;; amdgpu-corpus repo=ROCm/aiter kind=harvested arch=n/a opt=n/a

/root/src/amdgpu-assembly/repos/ROCm__aiter/hsa/gfx942/fmha_v3_bwd/bwd_hd64_bf16_causal_a16_rtz.co:	file format elf64-amdgpu

Disassembly of section .text:

0000000000003e00 <_ZN5aiter33fmha_bwd_hd64_bf16_causal_a16_rtzE>:
	s_and_b32 s1, s1, 0xffff                                   // 000000003E00: 8601FF01 0000FFFF
	s_load_dwordx2 s[32:33], s[0:1], 0x0                       // 000000003E08: C0060800 00000000
	s_load_dwordx2 s[36:37], s[0:1], 0x10                      // 000000003E10: C0060900 00000010
	s_load_dwordx2 s[40:41], s[0:1], 0x20                      // 000000003E18: C0060A00 00000020
	s_load_dwordx2 s[8:9], s[0:1], 0x30                        // 000000003E20: C0060200 00000030
	s_load_dwordx2 s[12:13], s[0:1], 0x40                      // 000000003E28: C0060300 00000040
	s_load_dwordx2 s[16:17], s[0:1], 0x50                      // 000000003E30: C0060400 00000050
	s_load_dwordx2 s[20:21], s[0:1], 0x60                      // 000000003E38: C0060500 00000060
	s_load_dwordx2 s[24:25], s[0:1], 0x70                      // 000000003E40: C0060600 00000070
	s_load_dwordx2 s[28:29], s[0:1], 0x80                      // 000000003E48: C0060700 00000080
	s_load_dword s48, s[0:1], 0x90                             // 000000003E50: C0020C00 00000090
	s_load_dword s49, s[0:1], 0xa0                             // 000000003E58: C0020C40 000000A0
	s_load_dword s50, s[0:1], 0xb0                             // 000000003E60: C0020C80 000000B0
	s_load_dword s51, s[0:1], 0xc0                             // 000000003E68: C0020CC0 000000C0
	s_load_dword s52, s[0:1], 0xd0                             // 000000003E70: C0020D00 000000D0
	s_load_dword s53, s[0:1], 0xe0                             // 000000003E78: C0020D40 000000E0
	s_load_dword s70, s[0:1], 0xf0                             // 000000003E80: C0021180 000000F0
	s_load_dword s44, s[0:1], 0x100                            // 000000003E88: C0020B00 00000100
	s_load_dword s5, s[0:1], 0x110                             // 000000003E90: C0020140 00000110
	s_load_dword s6, s[0:1], 0x120                             // 000000003E98: C0020180 00000120
	s_load_dword s7, s[0:1], 0x130                             // 000000003EA0: C00201C0 00000130
	s_load_dword s46, s[0:1], 0x140                            // 000000003EA8: C0020B80 00000140
	s_load_dword s93, s[0:1], 0x180                            // 000000003EB0: C0021740 00000180
	s_load_dword s92, s[0:1], 0x240                            // 000000003EB8: C0021700 00000240
	v_lshrrev_b32_e32 v1, 10, v0                               // 000000003EC0: 2002008A
	v_lshrrev_b32_e32 v2, 10, v1                               // 000000003EC4: 2004028A
	v_and_b32_e32 v2, 0x3ff, v2                                // 000000003EC8: 260404FF 000003FF
	v_and_b32_e32 v1, 0x3ff, v1                                // 000000003ED0: 260202FF 000003FF
	v_and_b32_e32 v0, 0x3ff, v0                                // 000000003ED8: 260000FF 000003FF
	v_lshrrev_b32_e32 v3, 6, v0                                // 000000003EE0: 20060086
	v_and_b32_e32 v0, 63, v0                                   // 000000003EE4: 260000BF
	s_mov_b32 s2, s2                                           // 000000003EE8: BE820002
	s_mov_b32 s3, s3                                           // 000000003EEC: BE830003
	s_mov_b32 s4, s4                                           // 000000003EF0: BE840004
	v_readfirstlane_b32 s47, v3                                // 000000003EF4: 7E5E0503
	s_waitcnt lgkmcnt(0)                                       // 000000003EF8: BF8CC07F
	s_mov_b32 s10, 0x80000000                                  // 000000003EFC: BE8A00FF 80000000
	s_mov_b32 s14, 0x80000000                                  // 000000003F04: BE8E00FF 80000000
	s_mov_b32 s18, 0x80000000                                  // 000000003F0C: BE9200FF 80000000
	s_mov_b32 s22, 0x80000000                                  // 000000003F14: BE9600FF 80000000
	s_mov_b32 s26, 0x80000000                                  // 000000003F1C: BE9A00FF 80000000
	s_mov_b32 s30, 0x80000000                                  // 000000003F24: BE9E00FF 80000000
	s_mov_b32 s38, 0x80000000                                  // 000000003F2C: BEA600FF 80000000
	s_mov_b32 s42, 0x80000000                                  // 000000003F34: BEAA00FF 80000000
	s_mov_b32 s11, 0x20000                                     // 000000003F3C: BE8B00FF 00020000
	s_mov_b32 s15, 0x20000                                     // 000000003F44: BE8F00FF 00020000
	s_mov_b32 s19, 0x20000                                     // 000000003F4C: BE9300FF 00020000
	s_mov_b32 s23, 0x20000                                     // 000000003F54: BE9700FF 00020000
	s_mov_b32 s27, 0x20000                                     // 000000003F5C: BE9B00FF 00020000
	s_mov_b32 s31, 0x20000                                     // 000000003F64: BE9F00FF 00020000
	s_mov_b32 s39, 0x20000                                     // 000000003F6C: BEA700FF 00020000
	s_mov_b32 s43, 0x20000                                     // 000000003F74: BEAB00FF 00020000
	s_and_b32 s9, s9, 0xffff                                   // 000000003F7C: 8609FF09 0000FFFF
	s_and_b32 s13, s13, 0xffff                                 // 000000003F84: 860DFF0D 0000FFFF
	s_and_b32 s17, s17, 0xffff                                 // 000000003F8C: 8611FF11 0000FFFF
	s_and_b32 s21, s21, 0xffff                                 // 000000003F94: 8615FF15 0000FFFF
	s_and_b32 s25, s25, 0xffff                                 // 000000003F9C: 8619FF19 0000FFFF
	s_and_b32 s29, s29, 0xffff                                 // 000000003FA4: 861DFF1D 0000FFFF
	s_and_b32 s37, s37, 0xffff                                 // 000000003FAC: 8625FF25 0000FFFF
	s_and_b32 s41, s41, 0xffff                                 // 000000003FB4: 8629FF29 0000FFFF
	s_or_b32 s9, s9, 0x40000                                   // 000000003FBC: 8709FF09 00040000
	s_or_b32 s13, s13, 0x40000                                 // 000000003FC4: 870DFF0D 00040000
	s_or_b32 s17, s17, 0x40000                                 // 000000003FCC: 8711FF11 00040000
	s_or_b32 s21, s21, 0x40000                                 // 000000003FD4: 8715FF15 00040000
	s_or_b32 s25, s25, 0x40000                                 // 000000003FDC: 8719FF19 00040000
	s_or_b32 s29, s29, 0x40000                                 // 000000003FE4: 871DFF1D 00040000
	s_or_b32 s37, s37, 0x40000                                 // 000000003FEC: 8725FF25 00040000
	s_or_b32 s41, s41, 0x40000                                 // 000000003FF4: 8729FF29 00040000
	v_accvgpr_write_b32 a159, 0                                // 000000003FFC: D3D9409F 18000080
	v_mov_b32_e32 v231, 0                                      // 000000004004: 7FCE0280
	s_mov_b32 s82, s8                                          // 000000004008: BED20008
	s_mov_b32 s84, s12                                         // 00000000400C: BED4000C
	s_mov_b32 s86, s16                                         // 000000004010: BED60010
	s_mov_b32 s88, s20                                         // 000000004014: BED80014
	s_mov_b32 s90, s32                                         // 000000004018: BEDA0020
	s_mov_b32 s83, s9                                          // 00000000401C: BED30009
	s_mov_b32 s85, s13                                         // 000000004020: BED5000D
	s_mov_b32 s87, s17                                         // 000000004024: BED70011
	s_mov_b32 s89, s21                                         // 000000004028: BED90015
	s_mov_b32 s91, s33                                         // 00000000402C: BEDB0021
	s_mov_b32 s71, s3                                          // 000000004030: BEC70003
	v_cvt_f32_u32_e32 v32, s44                                 // 000000004034: 7E400C2C
	s_sub_i32 s60, 0, s44                                      // 000000004038: 81BC2C80
	v_rcp_iflag_f32_e32 v32, v32                               // 00000000403C: 7E404720
	s_nop 0                                                    // 000000004040: BF800000
	v_mul_f32_e32 v32, 0x4f7ffffe, v32                         // 000000004044: 0A4040FF 4F7FFFFE
	v_cvt_u32_f32_e32 v32, v32                                 // 00000000404C: 7E400F20
	v_mul_lo_u32 v33, s60, v32                                 // 000000004050: D2850021 0002403C
	v_mul_hi_u32 v33, v32, v33                                 // 000000004058: D2860021 00024320
	v_add_u32_e32 v32, v32, v33                                // 000000004060: 68404320
	v_mul_hi_u32 v32, s71, v32                                 // 000000004064: D2860020 00024047
	v_mul_lo_u32 v33, v32, s44                                 // 00000000406C: D2850021 00005920
	v_sub_u32_e32 v35, s71, v33                                // 000000004074: 6A464247
	v_add_u32_e32 v34, 1, v32                                  // 000000004078: 68444081
	v_cmp_le_u32_e32 vcc, s44, v35                             // 00000000407C: 7D96462C
	v_subrev_u32_e32 v33, s44, v35                             // 000000004080: 6C42462C
	s_nop 0                                                    // 000000004084: BF800000
	v_cndmask_b32_e32 v32, v32, v34, vcc                       // 000000004088: 00404520
	v_cndmask_b32_e32 v35, v35, v33, vcc                       // 00000000408C: 00464323
	v_add_u32_e32 v33, 1, v32                                  // 000000004090: 68424081
	v_cmp_le_u32_e32 vcc, s44, v35                             // 000000004094: 7D96462C
	s_nop 1                                                    // 000000004098: BF800001
	v_cndmask_b32_e32 v35, v32, v33, vcc                       // 00000000409C: 00464320
	s_nop 3                                                    // 0000000040A0: BF800003
	v_readfirstlane_b32 s45, v35                               // 0000000040A4: 7E5A0523
	s_nop 3                                                    // 0000000040A8: BF800003
	s_add_u32 s71, 0x80, s50                                   // 0000000040AC: 804732FF 00000080
	s_mov_b32 s74, 0xc0                                        // 0000000040B4: BECA00FF 000000C0
	v_cvt_f32_u32_e32 v32, s74                                 // 0000000040BC: 7E400C4A
	s_sub_i32 s60, 0, s74                                      // 0000000040C0: 81BC4A80
	v_rcp_iflag_f32_e32 v32, v32                               // 0000000040C4: 7E404720
	s_nop 0                                                    // 0000000040C8: BF800000
	v_mul_f32_e32 v32, 0x4f7ffffe, v32                         // 0000000040CC: 0A4040FF 4F7FFFFE
	v_cvt_u32_f32_e32 v32, v32                                 // 0000000040D4: 7E400F20
	v_mul_lo_u32 v33, s60, v32                                 // 0000000040D8: D2850021 0002403C
	v_mul_hi_u32 v33, v32, v33                                 // 0000000040E0: D2860021 00024320
	v_add_u32_e32 v32, v32, v33                                // 0000000040E8: 68404320
	v_mul_hi_u32 v32, s71, v32                                 // 0000000040EC: D2860020 00024047
	v_mul_lo_u32 v33, v32, s74                                 // 0000000040F4: D2850021 00009520
	v_sub_u32_e32 v35, s71, v33                                // 0000000040FC: 6A464247
	v_add_u32_e32 v34, 1, v32                                  // 000000004100: 68444081
	v_cmp_le_u32_e32 vcc, s74, v35                             // 000000004104: 7D96464A
	v_subrev_u32_e32 v33, s74, v35                             // 000000004108: 6C42464A
	s_nop 0                                                    // 00000000410C: BF800000
	v_cndmask_b32_e32 v32, v32, v34, vcc                       // 000000004110: 00404520
	v_cndmask_b32_e32 v35, v35, v33, vcc                       // 000000004114: 00464323
	v_add_u32_e32 v33, 1, v32                                  // 000000004118: 68424081
	v_cmp_le_u32_e32 vcc, s74, v35                             // 00000000411C: 7D96464A
	s_nop 1                                                    // 000000004120: BF800001
	v_cndmask_b32_e32 v35, v32, v33, vcc                       // 000000004124: 00464320
	s_nop 3                                                    // 000000004128: BF800003
	v_readfirstlane_b32 s77, v35                               // 00000000412C: 7E9A0523
	s_nop 3                                                    // 000000004130: BF800003
	v_mov_b32_e32 v32, s48                                     // 000000004134: 7E400230
	v_mul_f32_e32 v32, s49, v32                                // 000000004138: 0A404031
	s_mov_b32 s66, 0                                           // 00000000413C: BEC20080
	s_mov_b32 s58, s50                                         // 000000004140: BEBA0032
	s_mov_b32 s59, 0                                           // 000000004144: BEBB0080
	s_mov_b32 s63, 0x5040100                                   // 000000004148: BEBF00FF 05040100
	s_mov_b32 s64, 0x7060302                                   // 000000004150: BEC000FF 07060302
	v_readfirstlane_b32 s57, v32                               // 000000004158: 7E720520
	v_mov_b32_e32 v34, 0x3020706                               // 00000000415C: 7E4402FF 03020706
	v_mov_b32_e32 v32, s63                                     // 000000004164: 7E40023F
	v_and_b32_e32 v33, 1, v0                                   // 000000004168: 26420081
	v_cmp_eq_u32_e32 vcc, 1, v33                               // 00000000416C: 7D944281
	s_mul_i32 s67, 32, s70                                     // 000000004170: 924346A0
	v_cndmask_b32_e32 v21, v32, v34, vcc                       // 000000004174: 002A4520
	v_mov_b32_e32 v229, 0xffff0000                             // 000000004178: 7FCA02FF FFFF0000
	v_mov_b32_e32 v230, 0x7fff0000                             // 000000004180: 7FCC02FF 7FFF0000
	v_mov_b32_e32 v231, 0x7fff                                 // 000000004188: 7FCE02FF 00007FFF
	s_cmp_lt_u32 s47, 2                                        // 000000004190: BF0A822F
	s_cselect_b32 s24, s24, s28                                // 000000004194: 85181C18
	s_cselect_b32 s25, s25, s29                                // 000000004198: 85191D19
	s_cselect_b32 s26, s26, s30                                // 00000000419C: 851A1E1A
	s_cselect_b32 s27, s27, s31                                // 0000000041A0: 851B1F1B
	s_lshr_b32 s60, s47, 1                                     // 0000000041A4: 8F3C812F
	s_lshl_b32 s60, s60, 8                                     // 0000000041A8: 8E3C883C
	s_add_u32 s80, 0x8b00, s60                                 // 0000000041AC: 80503CFF 00008B00
	s_add_u32 s81, 0x200, s80                                  // 0000000041B4: 805150FF 00000200
	s_mov_b32 s75, 0                                           // 0000000041BC: BECB0080
	s_mov_b32 s76, 1                                           // 0000000041C0: BECC0081
	s_lshl_b32 s60, s2, 1                                      // 0000000041C4: 8E3C8102
	s_add_u32 s60, 1, s60                                      // 0000000041C8: 803C3C81
	s_mul_i32 s60, 0xc0, s60                                   // 0000000041CC: 923C3CFF 000000C0
	s_cmp_ge_i32 s60, s50                                      // 0000000041D4: BF03323C
	s_cselect_b32 s76, s76, 2                                  // 0000000041D8: 854C824C

00000000000041dc <label_00F7>:
	s_mov_b32 m0, s80                                          // 0000000041DC: BEFC0050
	s_mov_b32 s66, 0                                           // 0000000041E0: BEC20080
	v_mov_b32_e32 v178, 0xff800000                             // 0000000041E4: 7F6402FF FF800000
	s_mov_b32 s74, 0                                           // 0000000041EC: BECA0080
	s_mul_i32 s68, 32, s70                                     // 0000000041F0: 924446A0
	s_mov_b32 s69, 32                                          // 0000000041F4: BEC500A0
	s_mul_i32 s60, s2, s51                                     // 0000000041F8: 923C3302
	s_mul_i32 s61, s45, s5                                     // 0000000041FC: 923D052D
	s_mul_i32 s62, s4, s6                                      // 000000004200: 923E0604
	s_add_u32 s54, s60, s61                                    // 000000004204: 80363D3C
	s_add_u32 s54, s54, s62                                    // 000000004208: 80363E36
	s_mul_i32 s61, s3, s52                                     // 00000000420C: 923D3403
	s_mul_i32 s62, s4, s53                                     // 000000004210: 923E3504
	s_add_u32 s55, s61, s62                                    // 000000004214: 80373E3D
	s_mul_i32 s60, 0xc0, s2                                    // 000000004218: 923C02FF 000000C0
	s_mul_i32 s60, s70, s60                                    // 000000004220: 923C3C46
	s_add_u32 s55, s60, s55                                    // 000000004224: 8037373C
	s_mov_b32 s56, s55                                         // 000000004228: BEB80037
	s_mul_i32 s59, 0xc0, s2                                    // 00000000422C: 923B02FF 000000C0
	s_add_u32 s73, 32, s59                                     // 000000004234: 80493BA0
	s_mul_i32 s62, s4, s93                                     // 000000004238: 923E5D04
	s_mul_i32 s62, s62, s92                                    // 00000000423C: 923E5C3E
	s_mul_i32 s61, s3, s92                                     // 000000004240: 923D5C03
	s_add_u32 s65, s61, s62                                    // 000000004244: 80413E3D
	s_mul_i32 s60, 0x300, s2                                   // 000000004248: 923C02FF 00000300
	s_add_u32 s65, s60, s65                                    // 000000004250: 8041413C
	s_mov_b32 s71, s7                                          // 000000004254: BEC70007
	v_lshrrev_b32_e32 v32, 4, v0                               // 000000004258: 20400084
	v_and_b32_e32 v33, 1, v32                                  // 00000000425C: 26424081
	v_lshlrev_b32_e32 v33, 1, v33                              // 000000004260: 24424281
	v_mul_i32_i24_e32 v33, s71, v33                            // 000000004264: 0C424247
	v_and_b32_e32 v34, 2, v32                                  // 000000004268: 26444082
	v_lshlrev_b32_e32 v34, 5, v34                              // 00000000426C: 24444485
	v_add_u32_e32 v33, v34, v33                                // 000000004270: 68424322
	v_and_b32_e32 v32, 15, v0                                  // 000000004274: 2640008F
	v_lshlrev_b32_e32 v32, 2, v32                              // 000000004278: 24404082
	v_add_u32_e32 v1, v32, v33                                 // 00000000427C: 68024320
	s_mul_i32 s60, s47, s71                                    // 000000004280: 923C472F
	s_mul_i32 s60, s60, 4                                      // 000000004284: 923C843C
	v_add_u32_e32 v1, s60, v1                                  // 000000004288: 6802023C
	v_add_u32_e32 v2, s71, v1                                  // 00000000428C: 68040247
	s_mul_i32 s60, 16, s71                                     // 000000004290: 923C4790
	v_add_u32_e32 v3, s60, v1                                  // 000000004294: 6806023C
	v_add_u32_e32 v4, s60, v2                                  // 000000004298: 6808043C
	v_lshrrev_b32_e32 v1, 2, v1                                // 00000000429C: 20020282
	v_lshrrev_b32_e32 v2, 2, v2                                // 0000000042A0: 20040482
	s_add_u32 s12, s54, s84                                    // 0000000042A4: 800C5436
	s_addc_u32 s13, 0, s85                                     // 0000000042A8: 820D5580
	s_add_u32 s16, s54, s86                                    // 0000000042AC: 80105636
	s_addc_u32 s17, 0, s87                                     // 0000000042B0: 82115780
	s_add_u32 s8, s55, s82                                     // 0000000042B4: 80085237
	s_addc_u32 s9, 0, s83                                      // 0000000042B8: 82095380
	s_add_u32 s20, s56, s88                                    // 0000000042BC: 80145838
	s_addc_u32 s21, 0, s89                                     // 0000000042C0: 82155980
	v_and_b32_e32 v15, 31, v0                                  // 0000000042C4: 261E009F
	v_lshlrev_b32_e32 v15, 2, v15                              // 0000000042C8: 241E1E82
	v_add_u32_e32 v15, s65, v15                                // 0000000042CC: 681E1E41
	v_lshrrev_b32_e32 v15, 2, v15                              // 0000000042D0: 201E1E82
	v_lshrrev_b32_e32 v32, 3, v0                               // 0000000042D4: 20400083
	v_mul_i32_i24_e32 v5, s46, v32                             // 0000000042D8: 0C0A402E
	v_lshrrev_b32_e32 v5, 2, v5                                // 0000000042DC: 200A0A82
	v_and_b32_e32 v32, 7, v0                                   // 0000000042E0: 26400087
	v_lshlrev_b32_e32 v33, 2, v32                              // 0000000042E4: 24424082
	v_add_u32_e32 v5, v33, v5                                  // 0000000042E8: 680A0B21
	s_mul_i32 s60, 16, s46                                     // 0000000042EC: 923C2E90
	s_mul_i32 s60, s47, s60                                    // 0000000042F0: 923C3C2F
	v_lshlrev_b32_e32 v5, 2, v5                                // 0000000042F4: 240A0A82
	v_add_u32_e32 v5, s60, v5                                  // 0000000042F8: 680A0A3C
	s_mul_i32 s60, 0xc0, s46                                   // 0000000042FC: 923C2EFF 000000C0
	s_mul_i32 s60, s2, s60                                     // 000000004304: 923C3C02
	s_mul_i32 s61, s3, s5                                      // 000000004308: 923D0503
	s_mul_i32 s62, s4, s6                                      // 00000000430C: 923E0604
	s_mul_i32 s62, s62, s44                                    // 000000004310: 923E2C3E
	s_add_u32 s60, s60, s61                                    // 000000004314: 803C3D3C
	s_add_u32 s60, s60, s62                                    // 000000004318: 803C3E3C
	v_add_u32_e32 v5, s60, v5                                  // 00000000431C: 680A0A3C
	v_lshrrev_b32_e32 v5, 2, v5                                // 000000004320: 200A0A82
	v_mov_b32_e32 v14, v5                                      // 000000004324: 7E1C0305
	v_lshrrev_b32_e32 v32, 5, v0                               // 000000004328: 20400085
	v_mul_i32_i24_e32 v6, s70, v32                             // 00000000432C: 0C0C4046
	v_lshrrev_b32_e32 v6, 2, v6                                // 000000004330: 200C0C82
	v_and_b32_e32 v32, 31, v0                                  // 000000004334: 2640009F
	v_add_u32_e32 v6, v32, v6                                  // 000000004338: 680C0D20
	s_mul_i32 s60, s70, 2                                      // 00000000433C: 923C8246
	s_mul_i32 s60, s47, s60                                    // 000000004340: 923C3C2F
	v_add_u32_e32 v6, s60, v6                                  // 000000004344: 680C0C3C
	v_lshlrev_b32_e32 v6, 2, v6                                // 000000004348: 240C0C82
	s_mul_i32 s60, 2, s70                                      // 00000000434C: 923C4682
	v_add_u32_e32 v7, s60, v6                                  // 000000004350: 680E0C3C
	v_add_u32_e32 v8, s60, v7                                  // 000000004354: 68100E3C
	v_add_u32_e32 v9, s60, v8                                  // 000000004358: 6812103C
	s_mov_b32 s60, s55                                         // 00000000435C: BEBC0037
	v_add_u32_e32 v12, s60, v9                                 // 000000004360: 6818123C
	v_add_u32_e32 v10, s60, v8                                 // 000000004364: 6814103C
	v_add_u32_e32 v8, s60, v7                                  // 000000004368: 68100E3C
	v_add_u32_e32 v6, s60, v6                                  // 00000000436C: 680C0C3C
	v_mov_b32_e32 v7, 0                                        // 000000004370: 7E0E0280
	v_mov_b32_e32 v9, 0                                        // 000000004374: 7E120280
	v_mov_b32_e32 v11, 0                                       // 000000004378: 7E160280
	v_mov_b32_e32 v13, 0                                       // 00000000437C: 7E1A0280
	s_mul_i32 s60, 3, s2                                       // 000000004380: 923C0283
	s_lshr_b32 s61, s50, 6                                     // 000000004384: 8F3D8632
	s_sub_i32 s72, s61, s60                                    // 000000004388: 81C83C3D
	s_cmp_lt_i32 s72, 3                                        // 00000000438C: BF048348
	s_cselect_b32 s72, s72, 3                                  // 000000004390: 85488348
	v_and_b32_e32 v32, 31, v0                                  // 000000004394: 2640009F
	v_lshrrev_b32_e32 v32, 1, v32                              // 000000004398: 20404081
	v_and_b32_e32 v33, 1, v32                                  // 00000000439C: 26424081
	v_lshlrev_b32_e32 v33, 4, v33                              // 0000000043A0: 24424284
	v_and_b32_e32 v34, 2, v32                                  // 0000000043A4: 26444082
	v_lshlrev_b32_e32 v34, 2, v34                              // 0000000043A8: 24444482
	v_add_u32_e32 v33, v34, v33                                // 0000000043AC: 68424322
	v_and_b32_e32 v34, 12, v32                                 // 0000000043B0: 2644408C
	v_lshrrev_b32_e32 v34, 1, v34                              // 0000000043B4: 20444481
	v_add_u32_e32 v33, v34, v33                                // 0000000043B8: 68424322
	v_lshrrev_b32_e32 v32, 5, v0                               // 0000000043BC: 20400085
	v_mul_i32_i24_e32 v34, 0x80, v32                           // 0000000043C0: 0C4440FF 00000080
	v_add_u32_e32 v33, v34, v33                                // 0000000043C8: 68424322
	v_and_b32_e32 v34, 1, v0                                   // 0000000043CC: 26440081
	v_add_u32_e32 v17, v34, v33                                // 0000000043D0: 68224322
	s_mul_i32 s60, s47, 32                                     // 0000000043D4: 923CA02F
	v_add_u32_e32 v17, s60, v17                                // 0000000043D8: 6822223C
	v_lshlrev_b32_e32 v17, 2, v17                              // 0000000043DC: 24222282
	v_lshrrev_b32_e32 v32, 4, v0                               // 0000000043E0: 20400084
	v_and_b32_e32 v33, 1, v32                                  // 0000000043E4: 26424081
	v_lshlrev_b32_e32 v33, 4, v33                              // 0000000043E8: 24424284
	v_and_b32_e32 v34, 2, v32                                  // 0000000043EC: 26444082
	v_mul_i32_i24_e32 v34, 4, v34                              // 0000000043F0: 0C444484
	v_add_u32_e32 v33, v34, v33                                // 0000000043F4: 68424322
	v_and_b32_e32 v32, 15, v0                                  // 0000000043F8: 2640008F
	v_lshrrev_b32_e32 v34, 2, v32                              // 0000000043FC: 20444082
	v_lshlrev_b32_e32 v34, 5, v34                              // 000000004400: 24444485
	v_add_u32_e32 v33, v34, v33                                // 000000004404: 68424322
	v_and_b32_e32 v32, 3, v0                                   // 000000004408: 26400083
	v_and_b32_e32 v34, 1, v32                                  // 00000000440C: 26444081
	v_mul_i32_i24_e32 v34, 0x108, v34                          // 000000004410: 0C4444FF 00000108
	v_add_u32_e32 v33, v34, v33                                // 000000004418: 68424322
	v_and_b32_e32 v34, 2, v32                                  // 00000000441C: 26444082
	v_lshlrev_b32_e32 v34, 1, v34                              // 000000004420: 24444481
	v_add_u32_e32 v16, v34, v33                                // 000000004424: 68204322
	v_lshlrev_b32_e32 v16, 2, v16                              // 000000004428: 24202082
	s_mul_i32 s60, s47, 0x880                                  // 00000000442C: 923CFF2F 00000880
	v_add_u32_e32 v28, s60, v16                                // 000000004434: 6838203C
	v_lshrrev_b32_e32 v32, 5, v0                               // 000000004438: 20400085
	v_mul_i32_i24_e32 v19, 0x80, v32                           // 00000000443C: 0C2640FF 00000080
	v_and_b32_e32 v32, 31, v0                                  // 000000004444: 2640009F
	v_and_b32_e32 v33, 7, v32                                  // 000000004448: 26424087
	v_and_b32_e32 v34, 1, v33                                  // 00000000444C: 26444281
	v_lshlrev_b32_e32 v34, 2, v34                              // 000000004450: 24444482
	v_add_u32_e32 v19, v34, v19                                // 000000004454: 68262722
	v_and_b32_e32 v34, 2, v33                                  // 000000004458: 26444282
	v_lshlrev_b32_e32 v34, 3, v34                              // 00000000445C: 24444483
	v_add_u32_e32 v19, v34, v19                                // 000000004460: 68262722
	v_and_b32_e32 v34, 4, v33                                  // 000000004464: 26444284
	v_lshlrev_b32_e32 v34, 1, v34                              // 000000004468: 24444481
	v_add_u32_e32 v19, v34, v19                                // 00000000446C: 68262722
	v_lshrrev_b32_e32 v33, 3, v32                              // 000000004470: 20424083
	v_and_b32_e32 v34, 1, v33                                  // 000000004474: 26444281
	v_lshlrev_b32_e32 v34, 1, v34                              // 000000004478: 24444481
	v_add_u32_e32 v19, v34, v19                                // 00000000447C: 68262722
	v_and_b32_e32 v34, 2, v33                                  // 000000004480: 26444282
	v_lshrrev_b32_e32 v34, 1, v34                              // 000000004484: 20444481
	v_add_u32_e32 v19, v34, v19                                // 000000004488: 68262722
	s_mul_i32 s60, s47, 32                                     // 00000000448C: 923CA02F
	v_add_u32_e32 v19, s60, v19                                // 000000004490: 6826263C
	v_lshlrev_b32_e32 v19, 2, v19                              // 000000004494: 24262682
	v_and_b32_e32 v32, 15, v0                                  // 000000004498: 2640008F
	v_and_b32_e32 v34, 1, v32                                  // 00000000449C: 26444081
	v_mul_i32_i24_e32 v18, 0x108, v34                          // 0000000044A0: 0C2444FF 00000108
	v_and_b32_e32 v34, 2, v32                                  // 0000000044A8: 26444082
	v_lshlrev_b32_e32 v34, 1, v34                              // 0000000044AC: 24444481
	v_add_u32_e32 v18, v34, v18                                // 0000000044B0: 68242522
	v_and_b32_e32 v34, 4, v32                                  // 0000000044B4: 26444084
	v_lshlrev_b32_e32 v34, 2, v34                              // 0000000044B8: 24444482
	v_add_u32_e32 v18, v34, v18                                // 0000000044BC: 68242522
	v_and_b32_e32 v34, 8, v32                                  // 0000000044C0: 26444088
	v_add_u32_e32 v18, v34, v18                                // 0000000044C4: 68242522
	v_lshrrev_b32_e32 v32, 4, v0                               // 0000000044C8: 20400084
	v_and_b32_e32 v34, 1, v32                                  // 0000000044CC: 26444081
	v_lshlrev_b32_e32 v34, 5, v34                              // 0000000044D0: 24444485
	v_add_u32_e32 v18, v34, v18                                // 0000000044D4: 68242522
	v_and_b32_e32 v33, 2, v32                                  // 0000000044D8: 26424082
	v_mul_i32_i24_e32 v34, 32, v33                             // 0000000044DC: 0C4442A0
	v_mul_i32_i24_e32 v33, 0x110, v33                          // 0000000044E0: 0C4242FF 00000110
	v_add_u32_e32 v29, v33, v18                                // 0000000044E8: 683A2521
	v_add_u32_e32 v18, v34, v18                                // 0000000044EC: 68242522
	v_lshlrev_b32_e32 v18, 2, v18                              // 0000000044F0: 24242482
	v_lshlrev_b32_e32 v29, 2, v29                              // 0000000044F4: 243A3A82
	s_and_b32 s60, 1, s47                                      // 0000000044F8: 863C2F81
	s_mul_i32 s60, s60, 0x200                                  // 0000000044FC: 923CFF3C 00000200
	v_add_u32_e32 v29, s60, v29                                // 000000004504: 683A3A3C
	v_lshrrev_b32_e32 v32, 4, v0                               // 000000004508: 20400084
	v_mul_i32_i24_e32 v27, 4, v32                              // 00000000450C: 0C364084
	v_and_b32_e32 v33, 3, v0                                   // 000000004510: 26420083
	v_add_u32_e32 v27, v33, v27                                // 000000004514: 68363721
	v_lshlrev_b32_e32 v27, 2, v27                              // 000000004518: 24363682
	v_lshrrev_b32_e32 v32, 5, v0                               // 00000000451C: 20400085
	v_mul_i32_i24_e32 v25, 2, v32                              // 000000004520: 0C324082
	v_and_b32_e32 v32, 31, v0                                  // 000000004524: 2640009F
	v_lshrrev_b32_e32 v32, 1, v32                              // 000000004528: 20404081
	v_mul_i32_i24_e32 v33, 34, v32                             // 00000000452C: 0C4240A2
	v_add_u32_e32 v25, v33, v25                                // 000000004530: 68323321
	v_and_b32_e32 v33, 1, v0                                   // 000000004534: 26420081
	v_add_u32_e32 v25, v33, v25                                // 000000004538: 68323321
	s_and_b32 s60, 1, s47                                      // 00000000453C: 863C2F81
	s_mul_i32 s60, s60, 16                                     // 000000004540: 923C903C
	s_lshr_b32 s61, s47, 1                                     // 000000004544: 8F3D812F
	s_mul_i32 s61, s61, 0x220                                  // 000000004548: 923DFF3D 00000220
	s_add_u32 s60, s60, s61                                    // 000000004550: 803C3D3C
	v_add_u32_e32 v25, s60, v25                                // 000000004554: 6832323C
	v_lshlrev_b32_e32 v25, 2, v25                              // 000000004558: 24323282
	v_lshrrev_b32_e32 v32, 4, v0                               // 00000000455C: 20400084
	v_mul_i32_i24_e32 v26, 34, v32                             // 000000004560: 0C3440A2
	v_and_b32_e32 v32, 15, v0                                  // 000000004564: 2640008F
	v_mul_i32_i24_e32 v33, 2, v32                              // 000000004568: 0C424082
	v_add_u32_e32 v26, v33, v26                                // 00000000456C: 68343521
	s_mul_i32 s60, s47, 0x110                                  // 000000004570: 923CFF2F 00000110
	v_add_u32_e32 v26, s60, v26                                // 000000004578: 6834343C
	v_lshlrev_b32_e32 v26, 2, v26                              // 00000000457C: 24343482
	v_lshrrev_b32_e32 v32, 5, v0                               // 000000004580: 20400085
	v_mul_i32_i24_e32 v23, 64, v32                             // 000000004584: 0C2E40C0
	v_and_b32_e32 v32, 31, v0                                  // 000000004588: 2640009F
	v_and_b32_e32 v32, 3, v32                                  // 00000000458C: 26404083
	v_and_b32_e32 v33, 1, v32                                  // 000000004590: 26424081
	v_mul_i32_i24_e32 v33, 4, v33                              // 000000004594: 0C424284
	v_add_u32_e32 v23, v33, v23                                // 000000004598: 682E2F21
	v_and_b32_e32 v33, 2, v32                                  // 00000000459C: 26424082
	v_mul_i32_i24_e32 v33, 0x44, v33                           // 0000000045A0: 0C4242FF 00000044
	v_add_u32_e32 v23, v33, v23                                // 0000000045A8: 682E2F21
	v_and_b32_e32 v32, 31, v0                                  // 0000000045AC: 2640009F
	v_lshrrev_b32_e32 v32, 2, v32                              // 0000000045B0: 20404082
	v_lshrrev_b32_e32 v34, 2, v32                              // 0000000045B4: 20444082
	v_mul_i32_i24_e32 v33, 16, v34                             // 0000000045B8: 0C424490
	v_add_u32_e32 v23, v33, v23                                // 0000000045BC: 682E2F21
	v_and_b32_e32 v33, 2, v32                                  // 0000000045C0: 26424082
	v_lshlrev_b32_e32 v33, 4, v33                              // 0000000045C4: 24424284
	v_add_u32_e32 v23, v33, v23                                // 0000000045C8: 682E2F21
	v_and_b32_e32 v33, 1, v32                                  // 0000000045CC: 26424081
	v_xor_b32_e32 v33, v34, v33                                // 0000000045D0: 2A424322
	v_mul_i32_i24_e32 v33, 8, v33                              // 0000000045D4: 0C424288
	v_add_u32_e32 v23, v33, v23                                // 0000000045D8: 682E2F21
	s_lshr_b32 s60, s47, 1                                     // 0000000045DC: 8F3C812F
	s_mul_i32 s60, s60, 0x6c0                                  // 0000000045E0: 923CFF3C 000006C0
	v_add_u32_e32 v23, s60, v23                                // 0000000045E8: 682E2E3C
	v_lshlrev_b32_e32 v23, 2, v23                              // 0000000045EC: 242E2E82
	v_lshrrev_b32_e32 v32, 5, v0                               // 0000000045F0: 20400085
	v_mul_i32_i24_e32 v24, 32, v32                             // 0000000045F4: 0C3040A0
	v_and_b32_e32 v32, 31, v0                                  // 0000000045F8: 2640009F
	v_and_b32_e32 v32, 3, v32                                  // 0000000045FC: 26404083
	v_and_b32_e32 v33, 1, v32                                  // 000000004600: 26424081
	v_mul_i32_i24_e32 v33, 4, v33                              // 000000004604: 0C424284
	v_add_u32_e32 v24, v33, v24                                // 000000004608: 68303121
	v_and_b32_e32 v33, 2, v32                                  // 00000000460C: 26424082
	v_lshrrev_b32_e32 v33, 1, v33                              // 000000004610: 20424281
	v_add_u32_e32 v24, v33, v24                                // 000000004614: 68303121
	v_and_b32_e32 v32, 31, v0                                  // 000000004618: 2640009F
	v_lshrrev_b32_e32 v32, 2, v32                              // 00000000461C: 20404082
	v_and_b32_e32 v34, 1, v32                                  // 000000004620: 26444081
	v_mul_i32_i24_e32 v33, 16, v34                             // 000000004624: 0C424490
	v_add_u32_e32 v24, v33, v24                                // 000000004628: 68303121
	v_and_b32_e32 v33, 2, v32                                  // 00000000462C: 26424082
	v_add_u32_e32 v24, v33, v24                                // 000000004630: 68303121
	v_lshrrev_b32_e32 v33, 2, v32                              // 000000004634: 20424082
	v_xor_b32_e32 v33, v34, v33                                // 000000004638: 2A424322
	v_mul_i32_i24_e32 v33, 8, v33                              // 00000000463C: 0C424288
	v_add_u32_e32 v24, v33, v24                                // 000000004640: 68303121
	s_and_b32 s60, 1, s47                                      // 000000004644: 863C2F81
	s_mul_i32 s60, s60, 64                                     // 000000004648: 923CC03C
	s_lshr_b32 s61, s47, 1                                     // 00000000464C: 8F3D812F
	s_mul_i32 s61, s61, 0x120                                  // 000000004650: 923DFF3D 00000120
	s_add_u32 s60, s60, s61                                    // 000000004658: 803C3D3C
	v_add_u32_e32 v24, s60, v24                                // 00000000465C: 6830303C
	v_lshlrev_b32_e32 v24, 2, v24                              // 000000004660: 24303082
	buffer_load_dword v180, v1, s[12:15], 0 idxen              // 000000004664: E0502000 8003B401
	buffer_load_dword v181, v2, s[12:15], 0 idxen              // 00000000466C: E0502000 8003B502
	s_mul_i32 s60, 16, s7                                      // 000000004674: 923C0790
	s_cmp_lt_i32 0, s72                                        // 000000004678: BF044880
	s_cselect_b32 s60, s60, 0                                  // 00000000467C: 853C803C
	s_add_u32 s12, s60, s12                                    // 000000004680: 800C0C3C
	s_addc_u32 s13, 0, s13                                     // 000000004684: 820D0D80
	buffer_load_dword v182, v1, s[12:15], 0 idxen              // 000000004688: E0502000 8003B601
	buffer_load_dword v183, v2, s[12:15], 0 idxen              // 000000004690: E0502000 8003B702
	s_mul_i32 s60, 16, s7                                      // 000000004698: 923C0790
	s_cmp_lt_i32 0, s72                                        // 00000000469C: BF044880
	s_cselect_b32 s60, s60, 0                                  // 0000000046A0: 853C803C
	s_add_u32 s12, s60, s12                                    // 0000000046A4: 800C0C3C
	s_addc_u32 s13, 0, s13                                     // 0000000046A8: 820D0D80
	buffer_load_dword v184, v1, s[12:15], 0 idxen              // 0000000046AC: E0502000 8003B801
	buffer_load_dword v185, v2, s[12:15], 0 idxen              // 0000000046B4: E0502000 8003B902
	s_mul_i32 s60, 16, s7                                      // 0000000046BC: 923C0790
	s_cmp_lt_i32 0, s72                                        // 0000000046C0: BF044880
	s_cselect_b32 s60, s60, 0                                  // 0000000046C4: 853C803C
	s_add_u32 s12, s60, s12                                    // 0000000046C8: 800C0C3C
	s_addc_u32 s13, 0, s13                                     // 0000000046CC: 820D0D80
	buffer_load_dword v186, v1, s[12:15], 0 idxen              // 0000000046D0: E0502000 8003BA01
	buffer_load_dword v187, v2, s[12:15], 0 idxen              // 0000000046D8: E0502000 8003BB02
	s_mul_i32 s60, 16, s7                                      // 0000000046E0: 923C0790
	s_cmp_lt_i32 1, s72                                        // 0000000046E4: BF044881
	s_cselect_b32 s60, s60, 0                                  // 0000000046E8: 853C803C
	s_add_u32 s12, s60, s12                                    // 0000000046EC: 800C0C3C
	s_addc_u32 s13, 0, s13                                     // 0000000046F0: 820D0D80
	buffer_load_dword v188, v1, s[12:15], 0 idxen              // 0000000046F4: E0502000 8003BC01
	buffer_load_dword v189, v2, s[12:15], 0 idxen              // 0000000046FC: E0502000 8003BD02
	s_mul_i32 s60, 16, s7                                      // 000000004704: 923C0790
	s_cmp_lt_i32 1, s72                                        // 000000004708: BF044881
	s_cselect_b32 s60, s60, 0                                  // 00000000470C: 853C803C
	s_add_u32 s12, s60, s12                                    // 000000004710: 800C0C3C
	s_addc_u32 s13, 0, s13                                     // 000000004714: 820D0D80
	buffer_load_dword v190, v1, s[12:15], 0 idxen              // 000000004718: E0502000 8003BE01
	buffer_load_dword v191, v2, s[12:15], 0 idxen              // 000000004720: E0502000 8003BF02
	s_mul_i32 s60, 16, s7                                      // 000000004728: 923C0790
	s_cmp_lt_i32 1, s72                                        // 00000000472C: BF044881
	s_cselect_b32 s60, s60, 0                                  // 000000004730: 853C803C
	s_add_u32 s12, s60, s12                                    // 000000004734: 800C0C3C
	s_addc_u32 s13, 0, s13                                     // 000000004738: 820D0D80
	buffer_load_dword v192, v1, s[12:15], 0 idxen              // 00000000473C: E0502000 8003C001
	buffer_load_dword v193, v2, s[12:15], 0 idxen              // 000000004744: E0502000 8003C102
	s_mul_i32 s60, 16, s7                                      // 00000000474C: 923C0790
	s_cmp_lt_i32 1, s72                                        // 000000004750: BF044881
	s_cselect_b32 s60, s60, 0                                  // 000000004754: 853C803C
	s_add_u32 s12, s60, s12                                    // 000000004758: 800C0C3C
	s_addc_u32 s13, 0, s13                                     // 00000000475C: 820D0D80
	buffer_load_dword v194, v1, s[12:15], 0 idxen              // 000000004760: E0502000 8003C201
	buffer_load_dword v195, v2, s[12:15], 0 idxen              // 000000004768: E0502000 8003C302
	s_mul_i32 s60, 16, s7                                      // 000000004770: 923C0790
	s_cmp_lt_i32 2, s72                                        // 000000004774: BF044882
	s_cselect_b32 s60, s60, 0                                  // 000000004778: 853C803C
	s_add_u32 s12, s60, s12                                    // 00000000477C: 800C0C3C
	s_addc_u32 s13, 0, s13                                     // 000000004780: 820D0D80
	buffer_load_dword v196, v1, s[12:15], 0 idxen              // 000000004784: E0502000 8003C401
	buffer_load_dword v197, v2, s[12:15], 0 idxen              // 00000000478C: E0502000 8003C502
	s_mul_i32 s60, 16, s7                                      // 000000004794: 923C0790
	s_cmp_lt_i32 2, s72                                        // 000000004798: BF044882
	s_cselect_b32 s60, s60, 0                                  // 00000000479C: 853C803C
	s_add_u32 s12, s60, s12                                    // 0000000047A0: 800C0C3C
	s_addc_u32 s13, 0, s13                                     // 0000000047A4: 820D0D80
	buffer_load_dword v198, v1, s[12:15], 0 idxen              // 0000000047A8: E0502000 8003C601
	buffer_load_dword v199, v2, s[12:15], 0 idxen              // 0000000047B0: E0502000 8003C702
	s_mul_i32 s60, 16, s7                                      // 0000000047B8: 923C0790
	s_cmp_lt_i32 2, s72                                        // 0000000047BC: BF044882
	s_cselect_b32 s60, s60, 0                                  // 0000000047C0: 853C803C
	s_add_u32 s12, s60, s12                                    // 0000000047C4: 800C0C3C
	s_addc_u32 s13, 0, s13                                     // 0000000047C8: 820D0D80
	buffer_load_dword v200, v1, s[12:15], 0 idxen              // 0000000047CC: E0502000 8003C801
	buffer_load_dword v201, v2, s[12:15], 0 idxen              // 0000000047D4: E0502000 8003C902
	s_mul_i32 s60, 16, s7                                      // 0000000047DC: 923C0790
	s_cmp_lt_i32 2, s72                                        // 0000000047E0: BF044882
	s_cselect_b32 s60, s60, 0                                  // 0000000047E4: 853C803C
	s_add_u32 s12, s60, s12                                    // 0000000047E8: 800C0C3C
	s_addc_u32 s13, 0, s13                                     // 0000000047EC: 820D0D80
	buffer_load_dword v202, v1, s[12:15], 0 idxen              // 0000000047F0: E0502000 8003CA01
	buffer_load_dword v203, v2, s[12:15], 0 idxen              // 0000000047F8: E0502000 8003CB02
	s_mul_i32 s60, 16, s7                                      // 000000004800: 923C0790
	s_cmp_lt_i32 3, s72                                        // 000000004804: BF044883
	s_cselect_b32 s60, s60, 0                                  // 000000004808: 853C803C
	s_add_u32 s12, s60, s12                                    // 00000000480C: 800C0C3C
	s_addc_u32 s13, 0, s13                                     // 000000004810: 820D0D80
	s_waitcnt vmcnt(16) lgkmcnt(0)                             // 000000004814: BF8C4070
	s_barrier                                                  // 000000004818: BF8A0000
	s_cmp_lt_i32 0, s72                                        // 00000000481C: BF044880
	s_cbranch_scc1 label_0291                                  // 000000004820: BF850008
	v_mov_b32_e32 v180, 0                                      // 000000004824: 7F680280
	v_mov_b32_e32 v181, 0                                      // 000000004828: 7F6A0280
	v_mov_b32_e32 v182, 0                                      // 00000000482C: 7F6C0280
	v_mov_b32_e32 v183, 0                                      // 000000004830: 7F6E0280
	v_mov_b32_e32 v184, 0                                      // 000000004834: 7F700280
	v_mov_b32_e32 v185, 0                                      // 000000004838: 7F720280
	v_mov_b32_e32 v186, 0                                      // 00000000483C: 7F740280
	v_mov_b32_e32 v187, 0                                      // 000000004840: 7F760280

0000000000004844 <label_0291>:
	v_perm_b32 v204, v181, v180, s63                           // 000000004844: D1ED00CC 00FF69B5
	v_perm_b32 v205, v181, v180, s64                           // 00000000484C: D1ED00CD 010369B5
	v_perm_b32 v206, v183, v182, s63                           // 000000004854: D1ED00CE 00FF6DB7
	v_perm_b32 v207, v183, v182, s64                           // 00000000485C: D1ED00CF 01036DB7
	v_perm_b32 v208, v185, v184, s63                           // 000000004864: D1ED00D0 00FF71B9
	v_perm_b32 v209, v185, v184, s64                           // 00000000486C: D1ED00D1 010371B9
	v_perm_b32 v210, v187, v186, s63                           // 000000004874: D1ED00D2 00FF75BB
	v_perm_b32 v211, v187, v186, s64                           // 00000000487C: D1ED00D3 010375BB
	ds_write_b32 v19, v204 offset:8704                         // 000000004884: D81A2200 0000CC13
	ds_write_b32 v19, v205 offset:9760                         // 00000000488C: D81A2620 0000CD13
	ds_write_b32 v19, v206 offset:10880                        // 000000004894: D81A2A80 0000CE13
	ds_write_b32 v19, v207 offset:11936                        // 00000000489C: D81A2EA0 0000CF13
	ds_write_b32 v19, v208 offset:13056                        // 0000000048A4: D81A3300 0000D013
	ds_write_b32 v19, v209 offset:14112                        // 0000000048AC: D81A3720 0000D113
	ds_write_b32 v19, v210 offset:15232                        // 0000000048B4: D81A3B80 0000D213
	ds_write_b32 v19, v211 offset:16288                        // 0000000048BC: D81A3FA0 0000D313
	ds_write_b32 v17, v180                                     // 0000000048C4: D81A0000 0000B411
	ds_write_b32 v17, v181 offset:1056                         // 0000000048CC: D81A0420 0000B511
	ds_write_b32 v17, v182 offset:2176                         // 0000000048D4: D81A0880 0000B611
	ds_write_b32 v17, v183 offset:3232                         // 0000000048DC: D81A0CA0 0000B711
	ds_write_b32 v17, v184 offset:4352                         // 0000000048E4: D81A1100 0000B811
	ds_write_b32 v17, v185 offset:5408                         // 0000000048EC: D81A1520 0000B911
	ds_write_b32 v17, v186 offset:6528                         // 0000000048F4: D81A1980 0000BA11
	ds_write_b32 v17, v187 offset:7584                         // 0000000048FC: D81A1DA0 0000BB11
	buffer_load_dword v180, v1, s[16:19], 0 idxen              // 000000004904: E0502000 8004B401
	buffer_load_dword v181, v2, s[16:19], 0 idxen              // 00000000490C: E0502000 8004B502
	s_mul_i32 s60, 16, s7                                      // 000000004914: 923C0790
	s_cmp_lt_i32 0, s72                                        // 000000004918: BF044880
	s_cselect_b32 s60, s60, 0                                  // 00000000491C: 853C803C
	s_add_u32 s16, s60, s16                                    // 000000004920: 8010103C
	s_addc_u32 s17, 0, s17                                     // 000000004924: 82111180
	buffer_load_dword v182, v1, s[16:19], 0 idxen              // 000000004928: E0502000 8004B601
	buffer_load_dword v183, v2, s[16:19], 0 idxen              // 000000004930: E0502000 8004B702
	s_mul_i32 s60, 16, s7                                      // 000000004938: 923C0790
	s_cmp_lt_i32 0, s72                                        // 00000000493C: BF044880
	s_cselect_b32 s60, s60, 0                                  // 000000004940: 853C803C
	s_add_u32 s16, s60, s16                                    // 000000004944: 8010103C
	s_addc_u32 s17, 0, s17                                     // 000000004948: 82111180
	buffer_load_dword v184, v1, s[16:19], 0 idxen              // 00000000494C: E0502000 8004B801
	buffer_load_dword v185, v2, s[16:19], 0 idxen              // 000000004954: E0502000 8004B902
	s_mul_i32 s60, 16, s7                                      // 00000000495C: 923C0790
	s_cmp_lt_i32 0, s72                                        // 000000004960: BF044880
	s_cselect_b32 s60, s60, 0                                  // 000000004964: 853C803C
	s_add_u32 s16, s60, s16                                    // 000000004968: 8010103C
	s_addc_u32 s17, 0, s17                                     // 00000000496C: 82111180
	buffer_load_dword v186, v1, s[16:19], 0 idxen              // 000000004970: E0502000 8004BA01
	buffer_load_dword v187, v2, s[16:19], 0 idxen              // 000000004978: E0502000 8004BB02
	s_mul_i32 s60, 16, s7                                      // 000000004980: 923C0790
	s_cmp_lt_i32 1, s72                                        // 000000004984: BF044881
	s_cselect_b32 s60, s60, 0                                  // 000000004988: 853C803C
	s_add_u32 s16, s60, s16                                    // 00000000498C: 8010103C
	s_addc_u32 s17, 0, s17                                     // 000000004990: 82111180
	s_waitcnt lgkmcnt(0)                                       // 000000004994: BF8CC07F
	s_barrier                                                  // 000000004998: BF8A0000
	ds_read_b128 a[24:27], v29 offset:8704                     // 00000000499C: DBFE2200 1800001D
	ds_read_b128 a[28:31], v29 offset:8960                     // 0000000049A4: DBFE2300 1C00001D
	ds_read_b128 a[32:35], v29 offset:13056                    // 0000000049AC: DBFE3300 2000001D
	ds_read_b128 a[36:39], v29 offset:13312                    // 0000000049B4: DBFE3400 2400001D
	ds_read_b128 a[0:3], v28                                   // 0000000049BC: DBFE0000 0000001C
	ds_read_b128 a[4:7], v28 offset:512                        // 0000000049C4: DBFE0200 0400001C
	s_waitcnt vmcnt(16) lgkmcnt(0)                             // 0000000049CC: BF8C4070
	s_barrier                                                  // 0000000049D0: BF8A0000
	s_cmp_lt_i32 1, s72                                        // 0000000049D4: BF044881
	s_cbranch_scc1 label_02FF                                  // 0000000049D8: BF850008
	v_mov_b32_e32 v188, 0                                      // 0000000049DC: 7F780280
	v_mov_b32_e32 v189, 0                                      // 0000000049E0: 7F7A0280
	v_mov_b32_e32 v190, 0                                      // 0000000049E4: 7F7C0280
	v_mov_b32_e32 v191, 0                                      // 0000000049E8: 7F7E0280
	v_mov_b32_e32 v192, 0                                      // 0000000049EC: 7F800280
	v_mov_b32_e32 v193, 0                                      // 0000000049F0: 7F820280
	v_mov_b32_e32 v194, 0                                      // 0000000049F4: 7F840280
	v_mov_b32_e32 v195, 0                                      // 0000000049F8: 7F860280

00000000000049fc <label_02FF>:
	v_perm_b32 v204, v189, v188, s63                           // 0000000049FC: D1ED00CC 00FF79BD
	v_perm_b32 v205, v189, v188, s64                           // 000000004A04: D1ED00CD 010379BD
	v_perm_b32 v206, v191, v190, s63                           // 000000004A0C: D1ED00CE 00FF7DBF
	v_perm_b32 v207, v191, v190, s64                           // 000000004A14: D1ED00CF 01037DBF
	v_perm_b32 v208, v193, v192, s63                           // 000000004A1C: D1ED00D0 00FF81C1
	v_perm_b32 v209, v193, v192, s64                           // 000000004A24: D1ED00D1 010381C1
	v_perm_b32 v210, v195, v194, s63                           // 000000004A2C: D1ED00D2 00FF85C3
	v_perm_b32 v211, v195, v194, s64                           // 000000004A34: D1ED00D3 010385C3
	ds_write_b32 v19, v204 offset:8704                         // 000000004A3C: D81A2200 0000CC13
	ds_write_b32 v19, v205 offset:9760                         // 000000004A44: D81A2620 0000CD13
	ds_write_b32 v19, v206 offset:10880                        // 000000004A4C: D81A2A80 0000CE13
	ds_write_b32 v19, v207 offset:11936                        // 000000004A54: D81A2EA0 0000CF13
	ds_write_b32 v19, v208 offset:13056                        // 000000004A5C: D81A3300 0000D013
	ds_write_b32 v19, v209 offset:14112                        // 000000004A64: D81A3720 0000D113
	ds_write_b32 v19, v210 offset:15232                        // 000000004A6C: D81A3B80 0000D213
	ds_write_b32 v19, v211 offset:16288                        // 000000004A74: D81A3FA0 0000D313
	ds_write_b32 v17, v188                                     // 000000004A7C: D81A0000 0000BC11
	ds_write_b32 v17, v189 offset:1056                         // 000000004A84: D81A0420 0000BD11
	ds_write_b32 v17, v190 offset:2176                         // 000000004A8C: D81A0880 0000BE11
	ds_write_b32 v17, v191 offset:3232                         // 000000004A94: D81A0CA0 0000BF11
	ds_write_b32 v17, v192 offset:4352                         // 000000004A9C: D81A1100 0000C011
	ds_write_b32 v17, v193 offset:5408                         // 000000004AA4: D81A1520 0000C111
	ds_write_b32 v17, v194 offset:6528                         // 000000004AAC: D81A1980 0000C211
	ds_write_b32 v17, v195 offset:7584                         // 000000004AB4: D81A1DA0 0000C311
	buffer_load_dword v188, v1, s[16:19], 0 idxen              // 000000004ABC: E0502000 8004BC01
	buffer_load_dword v189, v2, s[16:19], 0 idxen              // 000000004AC4: E0502000 8004BD02
	s_mul_i32 s60, 16, s7                                      // 000000004ACC: 923C0790
	s_cmp_lt_i32 1, s72                                        // 000000004AD0: BF044881
	s_cselect_b32 s60, s60, 0                                  // 000000004AD4: 853C803C
	s_add_u32 s16, s60, s16                                    // 000000004AD8: 8010103C
	s_addc_u32 s17, 0, s17                                     // 000000004ADC: 82111180
	buffer_load_dword v190, v1, s[16:19], 0 idxen              // 000000004AE0: E0502000 8004BE01
	buffer_load_dword v191, v2, s[16:19], 0 idxen              // 000000004AE8: E0502000 8004BF02
	s_mul_i32 s60, 16, s7                                      // 000000004AF0: 923C0790
	s_cmp_lt_i32 1, s72                                        // 000000004AF4: BF044881
	s_cselect_b32 s60, s60, 0                                  // 000000004AF8: 853C803C
	s_add_u32 s16, s60, s16                                    // 000000004AFC: 8010103C
	s_addc_u32 s17, 0, s17                                     // 000000004B00: 82111180
	buffer_load_dword v192, v1, s[16:19], 0 idxen              // 000000004B04: E0502000 8004C001
	buffer_load_dword v193, v2, s[16:19], 0 idxen              // 000000004B0C: E0502000 8004C102
	s_mul_i32 s60, 16, s7                                      // 000000004B14: 923C0790
	s_cmp_lt_i32 1, s72                                        // 000000004B18: BF044881
	s_cselect_b32 s60, s60, 0                                  // 000000004B1C: 853C803C
	s_add_u32 s16, s60, s16                                    // 000000004B20: 8010103C
	s_addc_u32 s17, 0, s17                                     // 000000004B24: 82111180
	buffer_load_dword v194, v1, s[16:19], 0 idxen              // 000000004B28: E0502000 8004C201
	buffer_load_dword v195, v2, s[16:19], 0 idxen              // 000000004B30: E0502000 8004C302
	s_mul_i32 s60, 16, s7                                      // 000000004B38: 923C0790
	s_cmp_lt_i32 2, s72                                        // 000000004B3C: BF044882
	s_cselect_b32 s60, s60, 0                                  // 000000004B40: 853C803C
	s_add_u32 s16, s60, s16                                    // 000000004B44: 8010103C
	s_addc_u32 s17, 0, s17                                     // 000000004B48: 82111180
	s_waitcnt lgkmcnt(0)                                       // 000000004B4C: BF8CC07F
	s_barrier                                                  // 000000004B50: BF8A0000
	ds_read_b128 a[40:43], v29 offset:8704                     // 000000004B54: DBFE2200 2800001D
	ds_read_b128 a[44:47], v29 offset:8960                     // 000000004B5C: DBFE2300 2C00001D
	ds_read_b128 a[48:51], v29 offset:13056                    // 000000004B64: DBFE3300 3000001D
	ds_read_b128 a[52:55], v29 offset:13312                    // 000000004B6C: DBFE3400 3400001D
	ds_read_b128 a[8:11], v28                                  // 000000004B74: DBFE0000 0800001C
	ds_read_b128 a[12:15], v28 offset:512                      // 000000004B7C: DBFE0200 0C00001C
	s_waitcnt vmcnt(16) lgkmcnt(0)                             // 000000004B84: BF8C4070
	s_barrier                                                  // 000000004B88: BF8A0000
	s_cmp_lt_i32 2, s72                                        // 000000004B8C: BF044882
	s_cbranch_scc1 label_036D                                  // 000000004B90: BF850008
	v_mov_b32_e32 v196, 0                                      // 000000004B94: 7F880280
	v_mov_b32_e32 v197, 0                                      // 000000004B98: 7F8A0280
	v_mov_b32_e32 v198, 0                                      // 000000004B9C: 7F8C0280
	v_mov_b32_e32 v199, 0                                      // 000000004BA0: 7F8E0280
	v_mov_b32_e32 v200, 0                                      // 000000004BA4: 7F900280
	v_mov_b32_e32 v201, 0                                      // 000000004BA8: 7F920280
	v_mov_b32_e32 v202, 0                                      // 000000004BAC: 7F940280
	v_mov_b32_e32 v203, 0                                      // 000000004BB0: 7F960280

0000000000004bb4 <label_036D>:
	v_perm_b32 v204, v197, v196, s63                           // 000000004BB4: D1ED00CC 00FF89C5
	v_perm_b32 v205, v197, v196, s64                           // 000000004BBC: D1ED00CD 010389C5
	v_perm_b32 v206, v199, v198, s63                           // 000000004BC4: D1ED00CE 00FF8DC7
	v_perm_b32 v207, v199, v198, s64                           // 000000004BCC: D1ED00CF 01038DC7
	v_perm_b32 v208, v201, v200, s63                           // 000000004BD4: D1ED00D0 00FF91C9
	v_perm_b32 v209, v201, v200, s64                           // 000000004BDC: D1ED00D1 010391C9
	v_perm_b32 v210, v203, v202, s63                           // 000000004BE4: D1ED00D2 00FF95CB
	v_perm_b32 v211, v203, v202, s64                           // 000000004BEC: D1ED00D3 010395CB
	ds_write_b32 v19, v204 offset:8704                         // 000000004BF4: D81A2200 0000CC13
	ds_write_b32 v19, v205 offset:9760                         // 000000004BFC: D81A2620 0000CD13
	ds_write_b32 v19, v206 offset:10880                        // 000000004C04: D81A2A80 0000CE13
	ds_write_b32 v19, v207 offset:11936                        // 000000004C0C: D81A2EA0 0000CF13
	ds_write_b32 v19, v208 offset:13056                        // 000000004C14: D81A3300 0000D013
	ds_write_b32 v19, v209 offset:14112                        // 000000004C1C: D81A3720 0000D113
	ds_write_b32 v19, v210 offset:15232                        // 000000004C24: D81A3B80 0000D213
	ds_write_b32 v19, v211 offset:16288                        // 000000004C2C: D81A3FA0 0000D313
	ds_write_b32 v17, v196                                     // 000000004C34: D81A0000 0000C411
	ds_write_b32 v17, v197 offset:1056                         // 000000004C3C: D81A0420 0000C511
	ds_write_b32 v17, v198 offset:2176                         // 000000004C44: D81A0880 0000C611
	ds_write_b32 v17, v199 offset:3232                         // 000000004C4C: D81A0CA0 0000C711
	ds_write_b32 v17, v200 offset:4352                         // 000000004C54: D81A1100 0000C811
	ds_write_b32 v17, v201 offset:5408                         // 000000004C5C: D81A1520 0000C911
	ds_write_b32 v17, v202 offset:6528                         // 000000004C64: D81A1980 0000CA11
	ds_write_b32 v17, v203 offset:7584                         // 000000004C6C: D81A1DA0 0000CB11
	buffer_load_dword v196, v1, s[16:19], 0 idxen              // 000000004C74: E0502000 8004C401
	buffer_load_dword v197, v2, s[16:19], 0 idxen              // 000000004C7C: E0502000 8004C502
	s_mul_i32 s60, 16, s7                                      // 000000004C84: 923C0790
	s_cmp_lt_i32 2, s72                                        // 000000004C88: BF044882
	s_cselect_b32 s60, s60, 0                                  // 000000004C8C: 853C803C
	s_add_u32 s16, s60, s16                                    // 000000004C90: 8010103C
	s_addc_u32 s17, 0, s17                                     // 000000004C94: 82111180
	buffer_load_dword v198, v1, s[16:19], 0 idxen              // 000000004C98: E0502000 8004C601
	buffer_load_dword v199, v2, s[16:19], 0 idxen              // 000000004CA0: E0502000 8004C702
	s_mul_i32 s60, 16, s7                                      // 000000004CA8: 923C0790
	s_cmp_lt_i32 2, s72                                        // 000000004CAC: BF044882
	s_cselect_b32 s60, s60, 0                                  // 000000004CB0: 853C803C
	s_add_u32 s16, s60, s16                                    // 000000004CB4: 8010103C
	s_addc_u32 s17, 0, s17                                     // 000000004CB8: 82111180
	buffer_load_dword v200, v1, s[16:19], 0 idxen              // 000000004CBC: E0502000 8004C801
	buffer_load_dword v201, v2, s[16:19], 0 idxen              // 000000004CC4: E0502000 8004C902
	s_mul_i32 s60, 16, s7                                      // 000000004CCC: 923C0790
	s_cmp_lt_i32 2, s72                                        // 000000004CD0: BF044882
	s_cselect_b32 s60, s60, 0                                  // 000000004CD4: 853C803C
	s_add_u32 s16, s60, s16                                    // 000000004CD8: 8010103C
	s_addc_u32 s17, 0, s17                                     // 000000004CDC: 82111180
	buffer_load_dword v202, v1, s[16:19], 0 idxen              // 000000004CE0: E0502000 8004CA01
	buffer_load_dword v203, v2, s[16:19], 0 idxen              // 000000004CE8: E0502000 8004CB02
	s_mul_i32 s60, 16, s7                                      // 000000004CF0: 923C0790
	s_cmp_lt_i32 3, s72                                        // 000000004CF4: BF044883
	s_cselect_b32 s60, s60, 0                                  // 000000004CF8: 853C803C
	s_add_u32 s16, s60, s16                                    // 000000004CFC: 8010103C
	s_addc_u32 s17, 0, s17                                     // 000000004D00: 82111180
	s_waitcnt lgkmcnt(0)                                       // 000000004D04: BF8CC07F
	s_barrier                                                  // 000000004D08: BF8A0000
	ds_read_b128 a[56:59], v29 offset:8704                     // 000000004D0C: DBFE2200 3800001D
	ds_read_b128 a[60:63], v29 offset:8960                     // 000000004D14: DBFE2300 3C00001D
	ds_read_b128 a[64:67], v29 offset:13056                    // 000000004D1C: DBFE3300 4000001D
	ds_read_b128 a[68:71], v29 offset:13312                    // 000000004D24: DBFE3400 4400001D
	ds_read_b128 a[16:19], v28                                 // 000000004D2C: DBFE0000 1000001C
	ds_read_b128 a[20:23], v28 offset:512                      // 000000004D34: DBFE0200 1400001C
	s_waitcnt vmcnt(16) lgkmcnt(0)                             // 000000004D3C: BF8C4070
	s_barrier                                                  // 000000004D40: BF8A0000
	s_cmp_lt_i32 0, s72                                        // 000000004D44: BF044880
	s_cbranch_scc1 label_03DB                                  // 000000004D48: BF850008
	v_mov_b32_e32 v180, 0                                      // 000000004D4C: 7F680280
	v_mov_b32_e32 v181, 0                                      // 000000004D50: 7F6A0280
	v_mov_b32_e32 v182, 0                                      // 000000004D54: 7F6C0280
	v_mov_b32_e32 v183, 0                                      // 000000004D58: 7F6E0280
	v_mov_b32_e32 v184, 0                                      // 000000004D5C: 7F700280
	v_mov_b32_e32 v185, 0                                      // 000000004D60: 7F720280
	v_mov_b32_e32 v186, 0                                      // 000000004D64: 7F740280
	v_mov_b32_e32 v187, 0                                      // 000000004D68: 7F760280

0000000000004d6c <label_03DB>:
	ds_write_b32 v17, v180                                     // 000000004D6C: D81A0000 0000B411
	ds_write_b32 v17, v181 offset:1056                         // 000000004D74: D81A0420 0000B511
	ds_write_b32 v17, v182 offset:2176                         // 000000004D7C: D81A0880 0000B611
	ds_write_b32 v17, v183 offset:3232                         // 000000004D84: D81A0CA0 0000B711
	ds_write_b32 v17, v184 offset:4352                         // 000000004D8C: D81A1100 0000B811
	ds_write_b32 v17, v185 offset:5408                         // 000000004D94: D81A1520 0000B911
	ds_write_b32 v17, v186 offset:6528                         // 000000004D9C: D81A1980 0000BA11
	ds_write_b32 v17, v187 offset:7584                         // 000000004DA4: D81A1DA0 0000BB11
	s_mov_b32 s71, s70                                         // 000000004DAC: BEC70046
	v_lshrrev_b32_e32 v32, 4, v0                               // 000000004DB0: 20400084
	v_and_b32_e32 v33, 1, v32                                  // 000000004DB4: 26424081
	v_lshlrev_b32_e32 v33, 1, v33                              // 000000004DB8: 24424281
	v_mul_i32_i24_e32 v33, s71, v33                            // 000000004DBC: 0C424247
	v_and_b32_e32 v34, 2, v32                                  // 000000004DC0: 26444082
	v_lshlrev_b32_e32 v34, 5, v34                              // 000000004DC4: 24444485
	v_add_u32_e32 v33, v34, v33                                // 000000004DC8: 68424322
	v_and_b32_e32 v32, 15, v0                                  // 000000004DCC: 2640008F
	v_lshlrev_b32_e32 v32, 2, v32                              // 000000004DD0: 24404082
	v_add_u32_e32 v1, v32, v33                                 // 000000004DD4: 68024320
	s_mul_i32 s60, s47, s71                                    // 000000004DD8: 923C472F
	s_mul_i32 s60, s60, 4                                      // 000000004DDC: 923C843C
	v_add_u32_e32 v1, s60, v1                                  // 000000004DE0: 6802023C
	v_add_u32_e32 v2, s71, v1                                  // 000000004DE4: 68040247
	s_mul_i32 s60, 16, s71                                     // 000000004DE8: 923C4790
	v_add_u32_e32 v3, s60, v1                                  // 000000004DEC: 6806023C
	v_add_u32_e32 v4, s60, v2                                  // 000000004DF0: 6808043C
	v_lshrrev_b32_e32 v1, 2, v1                                // 000000004DF4: 20020282
	v_lshrrev_b32_e32 v2, 2, v2                                // 000000004DF8: 20040482
	v_lshrrev_b32_e32 v3, 2, v3                                // 000000004DFC: 20060682
	v_lshrrev_b32_e32 v4, 2, v4                                // 000000004E00: 20080882
	buffer_load_dword v36, v1, s[8:11], 0 idxen                // 000000004E04: E0502000 80022401
	buffer_load_dword v37, v2, s[8:11], 0 idxen                // 000000004E0C: E0502000 80022502
	buffer_load_dword v38, v3, s[8:11], 0 idxen                // 000000004E14: E0502000 80022603
	buffer_load_dword v39, v4, s[8:11], 0 idxen                // 000000004E1C: E0502000 80022704
	buffer_load_dword v44, v1, s[20:23], 0 idxen               // 000000004E24: E0502000 80052C01
	buffer_load_dword v45, v2, s[20:23], 0 idxen               // 000000004E2C: E0502000 80052D02
	buffer_load_dword v46, v3, s[20:23], 0 idxen               // 000000004E34: E0502000 80052E03
	buffer_load_dword v47, v4, s[20:23], 0 idxen               // 000000004E3C: E0502000 80052F04
	s_waitcnt lgkmcnt(0)                                       // 000000004E44: BF8CC07F
	s_barrier                                                  // 000000004E48: BF8A0000
	ds_read_b128 a[72:75], v28                                 // 000000004E4C: DBFE0000 4800001C
	ds_read_b128 a[76:79], v28 offset:512                      // 000000004E54: DBFE0200 4C00001C
	s_add_u32 s8, s68, s8                                      // 000000004E5C: 80080844
	s_addc_u32 s9, 0, s9                                       // 000000004E60: 82090980
	s_add_u32 s20, s68, s20                                    // 000000004E64: 80141444
	s_addc_u32 s21, 0, s21                                     // 000000004E68: 82151580
	s_waitcnt vmcnt(16) lgkmcnt(0)                             // 000000004E6C: BF8C4070
	s_barrier                                                  // 000000004E70: BF8A0000
	s_cmp_lt_i32 1, s72                                        // 000000004E74: BF044881
	s_cbranch_scc1 label_0427                                  // 000000004E78: BF850008
	v_mov_b32_e32 v188, 0                                      // 000000004E7C: 7F780280
	v_mov_b32_e32 v189, 0                                      // 000000004E80: 7F7A0280
	v_mov_b32_e32 v190, 0                                      // 000000004E84: 7F7C0280
	v_mov_b32_e32 v191, 0                                      // 000000004E88: 7F7E0280
	v_mov_b32_e32 v192, 0                                      // 000000004E8C: 7F800280
	v_mov_b32_e32 v193, 0                                      // 000000004E90: 7F820280
	v_mov_b32_e32 v194, 0                                      // 000000004E94: 7F840280
	v_mov_b32_e32 v195, 0                                      // 000000004E98: 7F860280

0000000000004e9c <label_0427>:
	ds_write_b32 v17, v188                                     // 000000004E9C: D81A0000 0000BC11
	ds_write_b32 v17, v189 offset:1056                         // 000000004EA4: D81A0420 0000BD11
	ds_write_b32 v17, v190 offset:2176                         // 000000004EAC: D81A0880 0000BE11
	ds_write_b32 v17, v191 offset:3232                         // 000000004EB4: D81A0CA0 0000BF11
	ds_write_b32 v17, v192 offset:4352                         // 000000004EBC: D81A1100 0000C011
	ds_write_b32 v17, v193 offset:5408                         // 000000004EC4: D81A1520 0000C111
	ds_write_b32 v17, v194 offset:6528                         // 000000004ECC: D81A1980 0000C211
	ds_write_b32 v17, v195 offset:7584                         // 000000004ED4: D81A1DA0 0000C311
	buffer_load_dword v40, v1, s[8:11], 0 idxen                // 000000004EDC: E0502000 80022801
	buffer_load_dword v41, v2, s[8:11], 0 idxen                // 000000004EE4: E0502000 80022902
	buffer_load_dword v42, v3, s[8:11], 0 idxen                // 000000004EEC: E0502000 80022A03
	buffer_load_dword v43, v4, s[8:11], 0 idxen                // 000000004EF4: E0502000 80022B04
	buffer_load_dword v48, v1, s[20:23], 0 idxen               // 000000004EFC: E0502000 80053001
	buffer_load_dword v49, v2, s[20:23], 0 idxen               // 000000004F04: E0502000 80053102
	buffer_load_dword v50, v3, s[20:23], 0 idxen               // 000000004F0C: E0502000 80053203
	buffer_load_dword v51, v4, s[20:23], 0 idxen               // 000000004F14: E0502000 80053304
	s_waitcnt lgkmcnt(0)                                       // 000000004F1C: BF8CC07F
	s_barrier                                                  // 000000004F20: BF8A0000
	ds_read_b128 a[80:83], v28                                 // 000000004F24: DBFE0000 5000001C
	ds_read_b128 a[84:87], v28 offset:512                      // 000000004F2C: DBFE0200 5400001C
	s_add_u32 s60, 64, s59                                     // 000000004F34: 803C3BC0
	s_cmp_lt_u32 s60, s58                                      // 000000004F38: BF0A3A3C
	s_cselect_b32 s68, s68, 0                                  // 000000004F3C: 85448044
	s_add_u32 s8, s68, s8                                      // 000000004F40: 80080844
	s_addc_u32 s9, 0, s9                                       // 000000004F44: 82090980
	s_add_u32 s20, s68, s20                                    // 000000004F48: 80141444
	s_addc_u32 s21, 0, s21                                     // 000000004F4C: 82151580
	s_waitcnt vmcnt(16) lgkmcnt(0)                             // 000000004F50: BF8C4070
	s_barrier                                                  // 000000004F54: BF8A0000
	s_cmp_lt_i32 2, s72                                        // 000000004F58: BF044882
	s_cbranch_scc1 label_0460                                  // 000000004F5C: BF850008
	v_mov_b32_e32 v196, 0                                      // 000000004F60: 7F880280
	v_mov_b32_e32 v197, 0                                      // 000000004F64: 7F8A0280
	v_mov_b32_e32 v198, 0                                      // 000000004F68: 7F8C0280
	v_mov_b32_e32 v199, 0                                      // 000000004F6C: 7F8E0280
	v_mov_b32_e32 v200, 0                                      // 000000004F70: 7F900280
	v_mov_b32_e32 v201, 0                                      // 000000004F74: 7F920280
	v_mov_b32_e32 v202, 0                                      // 000000004F78: 7F940280
	v_mov_b32_e32 v203, 0                                      // 000000004F7C: 7F960280

0000000000004f80 <label_0460>:
	ds_write_b32 v17, v196                                     // 000000004F80: D81A0000 0000C411
	ds_write_b32 v17, v197 offset:1056                         // 000000004F88: D81A0420 0000C511
	ds_write_b32 v17, v198 offset:2176                         // 000000004F90: D81A0880 0000C611
	ds_write_b32 v17, v199 offset:3232                         // 000000004F98: D81A0CA0 0000C711
	ds_write_b32 v17, v200 offset:4352                         // 000000004FA0: D81A1100 0000C811
	ds_write_b32 v17, v201 offset:5408                         // 000000004FA8: D81A1520 0000C911
	ds_write_b32 v17, v202 offset:6528                         // 000000004FB0: D81A1980 0000CA11
	ds_write_b32 v17, v203 offset:7584                         // 000000004FB8: D81A1DA0 0000CB11
	s_waitcnt lgkmcnt(0)                                       // 000000004FC0: BF8CC07F
	s_barrier                                                  // 000000004FC4: BF8A0000
	ds_read_b128 a[88:91], v28                                 // 000000004FC8: DBFE0000 5800001C
	ds_read_b128 a[92:95], v28 offset:512                      // 000000004FD0: DBFE0200 5C00001C
	s_waitcnt vmcnt(8) lgkmcnt(0)                              // 000000004FD8: BF8C0078
	s_barrier                                                  // 000000004FDC: BF8A0000
	buffer_load_dword v15, s[24:27], 0 idxen lds               // 000000004FE0: E0512000 8006000F
	s_mov_b32 m0, s81                                          // 000000004FE8: BEFC0051
	v_add_u32_e32 v15, s69, v15                                // 000000004FEC: 681E1E45
	v_perm_b32 v100, v37, v36, s63                             // 000000004FF0: D1ED0064 00FE4925
	v_perm_b32 v101, v37, v36, s64                             // 000000004FF8: D1ED0065 01024925
	v_perm_b32 v102, v39, v38, s63                             // 000000005000: D1ED0066 00FE4D27
	v_perm_b32 v103, v39, v38, s64                             // 000000005008: D1ED0067 01024D27
	ds_write_b32 v19, v100 offset:4352                         // 000000005010: D81A1100 00006413
	ds_write_b32 v19, v101 offset:5408                         // 000000005018: D81A1520 00006513
	ds_write_b32 v19, v102 offset:6528                         // 000000005020: D81A1980 00006613
	ds_write_b32 v19, v103 offset:7584                         // 000000005028: D81A1DA0 00006713
	ds_write_b32 v17, v36                                      // 000000005030: D81A0000 00002411
	ds_write_b32 v17, v37 offset:1056                          // 000000005038: D81A0420 00002511
	ds_write_b32 v17, v38 offset:2176                          // 000000005040: D81A0880 00002611
	ds_write_b32 v17, v39 offset:3232                          // 000000005048: D81A0CA0 00002711
	buffer_load_dword v15, s[24:27], 0 idxen lds               // 000000005050: E0512000 8006000F
	s_add_u32 s60, 64, s59                                     // 000000005058: 803C3BC0
	s_cmp_lt_u32 s60, s58                                      // 00000000505C: BF0A3A3C
	s_cselect_b32 s69, s69, 0                                  // 000000005060: 85458045
	s_mov_b32 m0, s80                                          // 000000005064: BEFC0050
	v_add_u32_e32 v15, s69, v15                                // 000000005068: 681E1E45
	v_perm_b32 v104, v45, v44, s63                             // 00000000506C: D1ED0068 00FE592D
	v_perm_b32 v105, v45, v44, s64                             // 000000005074: D1ED0069 0102592D
	v_perm_b32 v106, v47, v46, s63                             // 00000000507C: D1ED006A 00FE5D2F
	v_perm_b32 v107, v47, v46, s64                             // 000000005084: D1ED006B 01025D2F
	ds_write_b32 v19, v104 offset:13056                        // 00000000508C: D81A3300 00006813
	ds_write_b32 v19, v105 offset:14112                        // 000000005094: D81A3720 00006913
	ds_write_b32 v19, v106 offset:15232                        // 00000000509C: D81A3B80 00006A13
	ds_write_b32 v19, v107 offset:16288                        // 0000000050A4: D81A3FA0 00006B13
	ds_write_b32 v17, v44 offset:8704                          // 0000000050AC: D81A2200 00002C11
	ds_write_b32 v17, v45 offset:9760                          // 0000000050B4: D81A2620 00002D11
	ds_write_b32 v17, v46 offset:10880                         // 0000000050BC: D81A2A80 00002E11
	ds_write_b32 v17, v47 offset:11936                         // 0000000050C4: D81A2EA0 00002F11
	s_waitcnt vmcnt(1) lgkmcnt(0)                              // 0000000050CC: BF8C0071
	s_barrier                                                  // 0000000050D0: BF8A0000
	ds_read_b128 a[96:99], v16                                 // 0000000050D4: DBFE0000 60000010
	ds_read_b128 a[100:103], v16 offset:512                    // 0000000050DC: DBFE0200 64000010
	ds_read_b128 a[104:107], v16 offset:2176                   // 0000000050E4: DBFE0880 68000010
	ds_read_b128 a[108:111], v16 offset:2688                   // 0000000050EC: DBFE0A80 6C000010
	ds_read_b128 v[108:111], v16 offset:8704                   // 0000000050F4: D9FE2200 6C000010
	ds_read_b128 v[112:115], v16 offset:9216                   // 0000000050FC: D9FE2400 70000010
	ds_read_b128 v[116:119], v16 offset:10880                  // 000000005104: D9FE2A80 74000010
	ds_read_b128 v[120:123], v16 offset:11392                  // 00000000510C: D9FE2C80 78000010
	ds_read_b32 v140, v27 offset:35584                         // 000000005114: D86C8B00 8C00001B
	ds_read_b32 v144, v27 offset:35648                         // 00000000511C: D86C8B40 9000001B
	ds_read_b32 v176, v27 offset:35840                         // 000000005124: D86C8C00 B000001B
	ds_read_b32 v177, v27 offset:35904                         // 00000000512C: D86C8C40 B100001B
	v_accvgpr_write_b32 a112, 0                                // 000000005134: D3D94070 18000080
	v_mov_b32_e32 v180, 0                                      // 00000000513C: 7F680280
	v_accvgpr_write_b32 a113, 0                                // 000000005140: D3D94071 18000080
	v_mov_b32_e32 v181, 0                                      // 000000005148: 7F6A0280
	v_accvgpr_write_b32 a114, 0                                // 00000000514C: D3D94072 18000080
	v_mov_b32_e32 v182, 0                                      // 000000005154: 7F6C0280
	v_accvgpr_write_b32 a115, 0                                // 000000005158: D3D94073 18000080
	v_mov_b32_e32 v183, 0                                      // 000000005160: 7F6E0280
	v_accvgpr_write_b32 a116, 0                                // 000000005164: D3D94074 18000080
	v_mov_b32_e32 v184, 0                                      // 00000000516C: 7F700280
	v_accvgpr_write_b32 a117, 0                                // 000000005170: D3D94075 18000080
	v_mov_b32_e32 v185, 0                                      // 000000005178: 7F720280
	v_accvgpr_write_b32 a118, 0                                // 00000000517C: D3D94076 18000080
	v_mov_b32_e32 v186, 0                                      // 000000005184: 7F740280
	v_accvgpr_write_b32 a119, 0                                // 000000005188: D3D94077 18000080
	v_mov_b32_e32 v187, 0                                      // 000000005190: 7F760280
	v_accvgpr_write_b32 a120, 0                                // 000000005194: D3D94078 18000080
	v_mov_b32_e32 v188, 0                                      // 00000000519C: 7F780280
	v_accvgpr_write_b32 a121, 0                                // 0000000051A0: D3D94079 18000080
	v_mov_b32_e32 v189, 0                                      // 0000000051A8: 7F7A0280
	v_accvgpr_write_b32 a122, 0                                // 0000000051AC: D3D9407A 18000080
	v_mov_b32_e32 v190, 0                                      // 0000000051B4: 7F7C0280
	v_accvgpr_write_b32 a123, 0                                // 0000000051B8: D3D9407B 18000080
	v_mov_b32_e32 v191, 0                                      // 0000000051C0: 7F7E0280
	v_accvgpr_write_b32 a124, 0                                // 0000000051C4: D3D9407C 18000080
	v_mov_b32_e32 v192, 0                                      // 0000000051CC: 7F800280
	v_accvgpr_write_b32 a125, 0                                // 0000000051D0: D3D9407D 18000080
	v_mov_b32_e32 v193, 0                                      // 0000000051D8: 7F820280
	v_accvgpr_write_b32 a126, 0                                // 0000000051DC: D3D9407E 18000080
	v_mov_b32_e32 v194, 0                                      // 0000000051E4: 7F840280
	v_accvgpr_write_b32 a127, 0                                // 0000000051E8: D3D9407F 18000080
	v_mov_b32_e32 v195, 0                                      // 0000000051F0: 7F860280
	v_accvgpr_write_b32 a128, 0                                // 0000000051F4: D3D94080 18000080
	v_mov_b32_e32 v196, 0                                      // 0000000051FC: 7F880280
	v_accvgpr_write_b32 a129, 0                                // 000000005200: D3D94081 18000080
	v_mov_b32_e32 v197, 0                                      // 000000005208: 7F8A0280
	v_accvgpr_write_b32 a130, 0                                // 00000000520C: D3D94082 18000080
	v_mov_b32_e32 v198, 0                                      // 000000005214: 7F8C0280
	v_accvgpr_write_b32 a131, 0                                // 000000005218: D3D94083 18000080
	v_mov_b32_e32 v199, 0                                      // 000000005220: 7F8E0280
	v_accvgpr_write_b32 a132, 0                                // 000000005224: D3D94084 18000080
	v_mov_b32_e32 v200, 0                                      // 00000000522C: 7F900280
	v_accvgpr_write_b32 a133, 0                                // 000000005230: D3D94085 18000080
	v_mov_b32_e32 v201, 0                                      // 000000005238: 7F920280
	v_accvgpr_write_b32 a134, 0                                // 00000000523C: D3D94086 18000080
	v_mov_b32_e32 v202, 0                                      // 000000005244: 7F940280
	v_accvgpr_write_b32 a135, 0                                // 000000005248: D3D94087 18000080
	v_mov_b32_e32 v203, 0                                      // 000000005250: 7F960280
	v_accvgpr_write_b32 a136, 0                                // 000000005254: D3D94088 18000080
	v_mov_b32_e32 v204, 0                                      // 00000000525C: 7F980280
	v_accvgpr_write_b32 a137, 0                                // 000000005260: D3D94089 18000080
	v_mov_b32_e32 v205, 0                                      // 000000005268: 7F9A0280
	v_accvgpr_write_b32 a138, 0                                // 00000000526C: D3D9408A 18000080
	v_mov_b32_e32 v206, 0                                      // 000000005274: 7F9C0280
	v_accvgpr_write_b32 a139, 0                                // 000000005278: D3D9408B 18000080
	v_mov_b32_e32 v207, 0                                      // 000000005280: 7F9E0280
	v_accvgpr_write_b32 a140, 0                                // 000000005284: D3D9408C 18000080
	v_mov_b32_e32 v208, 0                                      // 00000000528C: 7FA00280
	v_accvgpr_write_b32 a141, 0                                // 000000005290: D3D9408D 18000080
	v_mov_b32_e32 v209, 0                                      // 000000005298: 7FA20280
	v_accvgpr_write_b32 a142, 0                                // 00000000529C: D3D9408E 18000080
	v_mov_b32_e32 v210, 0                                      // 0000000052A4: 7FA40280
	v_accvgpr_write_b32 a143, 0                                // 0000000052A8: D3D9408F 18000080
	v_mov_b32_e32 v211, 0                                      // 0000000052B0: 7FA60280
	v_accvgpr_write_b32 a144, 0                                // 0000000052B4: D3D94090 18000080
	v_mov_b32_e32 v212, 0                                      // 0000000052BC: 7FA80280
	v_accvgpr_write_b32 a145, 0                                // 0000000052C0: D3D94091 18000080
	v_mov_b32_e32 v213, 0                                      // 0000000052C8: 7FAA0280
	v_accvgpr_write_b32 a146, 0                                // 0000000052CC: D3D94092 18000080
	v_mov_b32_e32 v214, 0                                      // 0000000052D4: 7FAC0280
	v_accvgpr_write_b32 a147, 0                                // 0000000052D8: D3D94093 18000080
	v_mov_b32_e32 v215, 0                                      // 0000000052E0: 7FAE0280
	v_accvgpr_write_b32 a148, 0                                // 0000000052E4: D3D94094 18000080
	v_mov_b32_e32 v216, 0                                      // 0000000052EC: 7FB00280
	v_accvgpr_write_b32 a149, 0                                // 0000000052F0: D3D94095 18000080
	v_mov_b32_e32 v217, 0                                      // 0000000052F8: 7FB20280
	v_accvgpr_write_b32 a150, 0                                // 0000000052FC: D3D94096 18000080
	v_mov_b32_e32 v218, 0                                      // 000000005304: 7FB40280
	v_accvgpr_write_b32 a151, 0                                // 000000005308: D3D94097 18000080
	v_mov_b32_e32 v219, 0                                      // 000000005310: 7FB60280
	v_accvgpr_write_b32 a152, 0                                // 000000005314: D3D94098 18000080
	v_mov_b32_e32 v220, 0                                      // 00000000531C: 7FB80280
	v_accvgpr_write_b32 a153, 0                                // 000000005320: D3D94099 18000080
	v_mov_b32_e32 v221, 0                                      // 000000005328: 7FBA0280
	v_accvgpr_write_b32 a154, 0                                // 00000000532C: D3D9409A 18000080
	v_mov_b32_e32 v222, 0                                      // 000000005334: 7FBC0280
	v_accvgpr_write_b32 a155, 0                                // 000000005338: D3D9409B 18000080
	v_mov_b32_e32 v223, 0                                      // 000000005340: 7FBE0280
	v_accvgpr_write_b32 a156, 0                                // 000000005344: D3D9409C 18000080
	v_mov_b32_e32 v224, 0                                      // 00000000534C: 7FC00280
	v_accvgpr_write_b32 a157, 0                                // 000000005350: D3D9409D 18000080
	v_mov_b32_e32 v225, 0                                      // 000000005358: 7FC20280
	v_accvgpr_write_b32 a158, 0                                // 00000000535C: D3D9409E 18000080
	v_mov_b32_e32 v226, 0                                      // 000000005364: 7FC40280
	v_accvgpr_write_b32 a159, 0                                // 000000005368: D3D9409F 18000080
	v_mov_b32_e32 v227, 0                                      // 000000005370: 7FC60280
	v_mov_b32_e32 v156, 0                                      // 000000005374: 7F380280
	v_mov_b32_e32 v157, 0                                      // 000000005378: 7F3A0280
	v_mov_b32_e32 v158, 0                                      // 00000000537C: 7F3C0280
	v_mov_b32_e32 v159, 0                                      // 000000005380: 7F3E0280
	v_mov_b32_e32 v160, 0                                      // 000000005384: 7F400280
	v_mov_b32_e32 v161, 0                                      // 000000005388: 7F420280
	v_mov_b32_e32 v162, 0                                      // 00000000538C: 7F440280
	v_mov_b32_e32 v163, 0                                      // 000000005390: 7F460280
	v_mov_b32_e32 v148, 0                                      // 000000005394: 7F280280
	v_mov_b32_e32 v149, 0                                      // 000000005398: 7F2A0280
	v_mov_b32_e32 v150, 0                                      // 00000000539C: 7F2C0280
	v_mov_b32_e32 v151, 0                                      // 0000000053A0: 7F2E0280
	v_mov_b32_e32 v152, 0                                      // 0000000053A4: 7F300280
	v_mov_b32_e32 v153, 0                                      // 0000000053A8: 7F320280
	v_mov_b32_e32 v154, 0                                      // 0000000053AC: 7F340280
	v_mov_b32_e32 v155, 0                                      // 0000000053B0: 7F360280
	s_waitcnt lgkmcnt(0)                                       // 0000000053B4: BF8CC07F
	s_barrier                                                  // 0000000053B8: BF8A0000
	buffer_load_dword v36, v1, s[8:11], 0 idxen                // 0000000053BC: E0502000 80022401
	buffer_load_dword v37, v2, s[8:11], 0 idxen                // 0000000053C4: E0502000 80022502
	buffer_load_dword v38, v3, s[8:11], 0 idxen                // 0000000053CC: E0502000 80022603
	buffer_load_dword v39, v4, s[8:11], 0 idxen                // 0000000053D4: E0502000 80022704
	buffer_load_dword v44, v1, s[20:23], 0 idxen               // 0000000053DC: E0502000 80052C01
	buffer_load_dword v45, v2, s[20:23], 0 idxen               // 0000000053E4: E0502000 80052D02
	buffer_load_dword v46, v3, s[20:23], 0 idxen               // 0000000053EC: E0502000 80052E03
	buffer_load_dword v47, v4, s[20:23], 0 idxen               // 0000000053F4: E0502000 80052F04
	buffer_load_dword v15, s[24:27], 0 idxen lds               // 0000000053FC: E0512000 8006000F
	s_add_u32 s60, 0x60, s59                                   // 000000005404: 803C3BFF 00000060
	s_cmp_lt_u32 s60, s58                                      // 00000000540C: BF0A3A3C
	s_cselect_b32 s68, s68, 0                                  // 000000005410: 85448044
	s_cselect_b32 s69, s69, 0                                  // 000000005414: 85458045
	s_mov_b32 m0, s81                                          // 000000005418: BEFC0051
	v_add_u32_e32 v15, s69, v15                                // 00000000541C: 681E1E45
	s_add_u32 s8, s68, s8                                      // 000000005420: 80080844
	s_addc_u32 s9, 0, s9                                       // 000000005424: 82090980
	s_add_u32 s20, s68, s20                                    // 000000005428: 80141444
	s_addc_u32 s21, 0, s21                                     // 00000000542C: 82151580
	v_mul_f32_e32 v140, s49, v140                              // 000000005430: 0B191831
	v_mul_f32_e32 v144, s49, v144                              // 000000005434: 0B212031
	v_perm_b32 v100, v41, v40, s63                             // 000000005438: D1ED0064 00FE5129
	v_perm_b32 v101, v41, v40, s64                             // 000000005440: D1ED0065 01025129
	v_perm_b32 v102, v43, v42, s63                             // 000000005448: D1ED0066 00FE552B
	v_perm_b32 v103, v43, v42, s64                             // 000000005450: D1ED0067 0102552B
	v_perm_b32 v104, v49, v48, s63                             // 000000005458: D1ED0068 00FE6131
	v_perm_b32 v105, v49, v48, s64                             // 000000005460: D1ED0069 01026131
	v_perm_b32 v106, v51, v50, s63                             // 000000005468: D1ED006A 00FE6533
	v_perm_b32 v107, v51, v50, s64                             // 000000005470: D1ED006B 01026533
	v_mov_b32_dpp v143, v140 quad_perm:[3,3,3,3] row_mask:0xf bank_mask:0xf// 000000005478: 7F1E02FA FF00FF8C
	v_mov_b32_dpp v142, v140 quad_perm:[2,2,2,2] row_mask:0xf bank_mask:0xf// 000000005480: 7F1C02FA FF00AA8C
	v_mov_b32_dpp v141, v140 quad_perm:[1,1,1,1] row_mask:0xf bank_mask:0xf// 000000005488: 7F1A02FA FF00558C
	v_mov_b32_dpp v140, v140 quad_perm:[0,0,0,0] row_mask:0xf bank_mask:0xf// 000000005490: 7F1802FA FF00008C
	v_mov_b32_dpp v147, v144 quad_perm:[3,3,3,3] row_mask:0xf bank_mask:0xf// 000000005498: 7F2602FA FF00FF90
	v_mov_b32_dpp v146, v144 quad_perm:[2,2,2,2] row_mask:0xf bank_mask:0xf// 0000000054A0: 7F2402FA FF00AA90
	v_mov_b32_dpp v145, v144 quad_perm:[1,1,1,1] row_mask:0xf bank_mask:0xf// 0000000054A8: 7F2202FA FF005590
	v_mov_b32_dpp v144, v144 quad_perm:[0,0,0,0] row_mask:0xf bank_mask:0xf// 0000000054B0: 7F2002FA FF000090
	s_waitcnt vmcnt(9)                                         // 0000000054B8: BF8C0F79
	s_barrier                                                  // 0000000054BC: BF8A0000
	s_cmp_lt_i32 s47, 2                                        // 0000000054C0: BF04822F
	s_cbranch_scc0 label_0D17                                  // 0000000054C4: BF840765
	s_nop 0                                                    // 0000000054C8: BF800000
	s_nop 0                                                    // 0000000054CC: BF800000
	s_nop 0                                                    // 0000000054D0: BF800000

00000000000054d4 <label_05B5>:
	s_waitcnt lgkmcnt(4)                                       // 0000000054D4: BF8CC47F
	s_barrier                                                  // 0000000054D8: BF8A0000
	v_mfma_f32_16x16x16_bf16 v[52:55], a[96:97], a[0:1], 0     // 0000000054DC: D3E10034 1A020160
	ds_write_b32 v17, v48 offset:8704                          // 0000000054E4: D81A2200 00003011
	ds_write_b32 v17, v49 offset:9760                          // 0000000054EC: D81A2620 00003111
	v_mfma_f32_16x16x16_bf16 v[52:55], a[98:99], a[2:3], v[52:55]// 0000000054F4: D3E10034 1CD20562
	v_mul_f32_e32 v148, s48, v148                              // 0000000054FC: 0B292830
	v_mul_f32_e32 v149, s48, v149                              // 000000005500: 0B2B2A30
	v_mfma_f32_16x16x16_bf16 v[52:55], a[100:101], a[4:5], v[52:55]// 000000005504: D3E10034 1CD20964
	ds_write_b32 v17, v50 offset:10880                         // 00000000550C: D81A2A80 00003211
	ds_write_b32 v17, v51 offset:11936                         // 000000005514: D81A2EA0 00003311
	v_mfma_f32_16x16x16_bf16 v[52:55], a[102:103], a[6:7], v[52:55]// 00000000551C: D3E10034 1CD20D66
	v_mul_f32_e32 v150, s48, v150                              // 000000005524: 0B2D2C30
	v_mul_f32_e32 v151, s48, v151                              // 000000005528: 0B2F2E30
	v_mfma_f32_16x16x16_bf16 v[56:59], a[96:97], a[8:9], 0     // 00000000552C: D3E10038 1A021160
	v_mul_f32_e32 v152, s48, v152                              // 000000005534: 0B313030
	v_mul_f32_e32 v153, s48, v153                              // 000000005538: 0B333230
	v_mfma_f32_16x16x16_bf16 v[56:59], a[98:99], a[10:11], v[56:59]// 00000000553C: D3E10038 1CE21562
	v_mul_f32_e32 v154, s48, v154                              // 000000005544: 0B353430
	v_mul_f32_e32 v155, s48, v155                              // 000000005548: 0B373630
	v_mfma_f32_16x16x16_bf16 v[56:59], a[100:101], a[12:13], v[56:59]// 00000000554C: D3E10038 1CE21964
	v_perm_b32 v148, v149, v148, s64                           // 000000005554: D1ED0094 01032995
	v_perm_b32 v149, v151, v150, s64                           // 00000000555C: D1ED0095 01032D97
	v_mfma_f32_16x16x16_bf16 v[56:59], a[102:103], a[14:15], v[56:59]// 000000005564: D3E10038 1CE21D66
	v_perm_b32 v150, v153, v152, s64                           // 00000000556C: D1ED0096 01033199
	v_perm_b32 v151, v155, v154, s64                           // 000000005574: D1ED0097 0103359B
	v_mfma_f32_16x16x16_bf16 v[60:63], a[96:97], a[16:17], 0   // 00000000557C: D3E1003C 1A022160
	ds_write_b64 v26, v[148:149] offset:31232                  // 000000005584: D89A7A00 0000941A
	v_mfma_f32_16x16x16_bf16 v[60:63], a[98:99], a[18:19], v[60:63]// 00000000558C: D3E1003C 1CF22562
	v_mfma_f32_16x16x16_bf16 v[60:63], a[100:101], a[20:21], v[60:63]// 000000005594: D3E1003C 1CF22964
	ds_write_b64 v26, v[150:151] offset:31776                  // 00000000559C: D89A7C20 0000961A
	v_mfma_f32_16x16x16_bf16 v[60:63], a[102:103], a[22:23], v[60:63]// 0000000055A4: D3E1003C 1CF22D66
	v_mfma_f32_16x16x16_bf16 v[64:67], a[104:105], a[0:1], 0   // 0000000055AC: D3E10040 1A020168
	ds_read_b128 v[124:127], v18 offset:13056                  // 0000000055B4: D9FE3300 7C000012
	ds_write_b32 v17, v40                                      // 0000000055BC: D81A0000 00002811
	v_mfma_f32_16x16x16_bf16 v[64:67], a[106:107], a[2:3], v[64:67]// 0000000055C4: D3E10040 1D02056A
	v_mfma_f32_16x16x16_bf16 v[64:67], a[108:109], a[4:5], v[64:67]// 0000000055CC: D3E10040 1D02096C
	v_mfma_f32_16x16x16_bf16 v[64:67], a[110:111], a[6:7], v[64:67]// 0000000055D4: D3E10040 1D020D6E
	ds_read_b128 v[128:131], v18 offset:13568                  // 0000000055DC: D9FE3500 80000012
	ds_write_b32 v17, v41 offset:1056                          // 0000000055E4: D81A0420 00002911
	v_mfma_f32_16x16x16_bf16 v[68:71], a[104:105], a[8:9], 0   // 0000000055EC: D3E10044 1A021168
	v_mfma_f32_16x16x16_bf16 v[68:71], a[106:107], a[10:11], v[68:71]// 0000000055F4: D3E10044 1D12156A
	v_mfma_f32_16x16x16_bf16 v[68:71], a[108:109], a[12:13], v[68:71]// 0000000055FC: D3E10044 1D12196C
	ds_read_b128 v[132:135], v18 offset:15232                  // 000000005604: D9FE3B80 84000012
	ds_write_b32 v17, v42 offset:2176                          // 00000000560C: D81A0880 00002A11
	v_mfma_f32_16x16x16_bf16 v[68:71], a[110:111], a[14:15], v[68:71]// 000000005614: D3E10044 1D121D6E
	v_mfma_f32_16x16x16_bf16 v[72:75], a[104:105], a[16:17], 0 // 00000000561C: D3E10048 1A022168
	v_mfma_f32_16x16x16_bf16 v[72:75], a[106:107], a[18:19], v[72:75]// 000000005624: D3E10048 1D22256A
	ds_read_b128 v[136:139], v18 offset:15744                  // 00000000562C: D9FE3D80 88000012
	ds_write_b32 v17, v43 offset:3232                          // 000000005634: D81A0CA0 00002B11
	v_mfma_f32_16x16x16_bf16 v[72:75], a[108:109], a[20:21], v[72:75]// 00000000563C: D3E10048 1D22296C
	v_mfma_f32_16x16x16_bf16 v[72:75], a[110:111], a[22:23], v[72:75]// 000000005644: D3E10048 1D222D6E
	s_cmp_lt_i32 s74, 12                                       // 00000000564C: BF048C4A
	s_cbranch_scc0 label_06FB                                  // 000000005650: BF8400E6
	s_mov_b32 s60, 0xffe0fffe                                  // 000000005654: BEBC00FF FFE0FFFE
	s_mov_b32 s61, 0xe000fe00                                  // 00000000565C: BEBD00FF E000FE00
	s_nop 0                                                    // 000000005664: BF800000
	s_add_u32 s62, 0, s47                                      // 000000005668: 803E2F80
	s_cmp_lt_i32 s74, s62                                      // 00000000566C: BF043E4A
	s_cbranch_scc1 label_0645                                  // 000000005670: BF850028
	s_cmp_eq_i32 s74, s62                                      // 000000005674: BF003E4A
	s_cbranch_scc1 label_062A                                  // 000000005678: BF85000B
	s_add_u32 s62, 4, s47                                      // 00000000567C: 803E2F84
	s_cmp_lt_i32 s74, s62                                      // 000000005680: BF043E4A
	s_cbranch_scc1 label_0665                                  // 000000005684: BF850043
	s_cmp_eq_i32 s74, s62                                      // 000000005688: BF003E4A
	s_cbranch_scc1 label_064A                                  // 00000000568C: BF850026
	s_add_u32 s62, 8, s47                                      // 000000005690: 803E2F88
	s_cmp_lt_i32 s74, s62                                      // 000000005694: BF043E4A
	s_cbranch_scc1 label_0685                                  // 000000005698: BF85005E
	s_cmp_eq_i32 s74, s62                                      // 00000000569C: BF003E4A
	s_cbranch_scc1 label_066A                                  // 0000000056A0: BF850041
	s_branch label_068A                                        // 0000000056A4: BF820060

00000000000056a8 <label_062A>:
	v_cndmask_b32_e64 v52, v52, v178, s[60:61]                 // 0000000056A8: D1000034 00F36534
	s_lshl_b32 s60, s60, 1                                     // 0000000056B0: 8E3C813C
	s_lshl_b32 s61, s61, 1                                     // 0000000056B4: 8E3D813D
	s_and_b32 s60, 0xfffeffff, s60                             // 0000000056B8: 863C3CFF FFFEFFFF
	s_and_b32 s61, 0xfffeffff, s61                             // 0000000056C0: 863D3DFF FFFEFFFF
	v_cndmask_b32_e64 v53, v53, v178, s[60:61]                 // 0000000056C8: D1000035 00F36535
	s_lshl_b32 s60, s60, 1                                     // 0000000056D0: 8E3C813C
	s_lshl_b32 s61, s61, 1                                     // 0000000056D4: 8E3D813D
	s_and_b32 s60, 0xfffeffff, s60                             // 0000000056D8: 863C3CFF FFFEFFFF
	s_and_b32 s61, 0xfffeffff, s61                             // 0000000056E0: 863D3DFF FFFEFFFF
	v_cndmask_b32_e64 v54, v54, v178, s[60:61]                 // 0000000056E8: D1000036 00F36536
	s_lshl_b32 s60, s60, 1                                     // 0000000056F0: 8E3C813C
	s_lshl_b32 s61, s61, 1                                     // 0000000056F4: 8E3D813D
	s_and_b32 s60, 0xfffeffff, s60                             // 0000000056F8: 863C3CFF FFFEFFFF
	s_and_b32 s61, 0xfffeffff, s61                             // 000000005700: 863D3DFF FFFEFFFF
	v_cndmask_b32_e64 v55, v55, v178, s[60:61]                 // 000000005708: D1000037 00F36537
	s_branch label_0665                                        // 000000005710: BF820020

0000000000005714 <label_0645>:
	v_mov_b32_e32 v52, v178                                    // 000000005714: 7E6803B2
	v_mov_b32_e32 v53, v178                                    // 000000005718: 7E6A03B2
	v_mov_b32_e32 v54, v178                                    // 00000000571C: 7E6C03B2
	v_mov_b32_e32 v55, v178                                    // 000000005720: 7E6E03B2
	s_branch label_0665                                        // 000000005724: BF82001B

0000000000005728 <label_064A>:
	v_cndmask_b32_e64 v56, v56, v178, s[60:61]                 // 000000005728: D1000038 00F36538
	s_lshl_b32 s60, s60, 1                                     // 000000005730: 8E3C813C
	s_lshl_b32 s61, s61, 1                                     // 000000005734: 8E3D813D
	s_and_b32 s60, 0xfffeffff, s60                             // 000000005738: 863C3CFF FFFEFFFF
	s_and_b32 s61, 0xfffeffff, s61                             // 000000005740: 863D3DFF FFFEFFFF
	v_cndmask_b32_e64 v57, v57, v178, s[60:61]                 // 000000005748: D1000039 00F36539
	s_lshl_b32 s60, s60, 1                                     // 000000005750: 8E3C813C
	s_lshl_b32 s61, s61, 1                                     // 000000005754: 8E3D813D
	s_and_b32 s60, 0xfffeffff, s60                             // 000000005758: 863C3CFF FFFEFFFF
	s_and_b32 s61, 0xfffeffff, s61                             // 000000005760: 863D3DFF FFFEFFFF
	v_cndmask_b32_e64 v58, v58, v178, s[60:61]                 // 000000005768: D100003A 00F3653A
	s_lshl_b32 s60, s60, 1                                     // 000000005770: 8E3C813C
	s_lshl_b32 s61, s61, 1                                     // 000000005774: 8E3D813D
	s_and_b32 s60, 0xfffeffff, s60                             // 000000005778: 863C3CFF FFFEFFFF
	s_and_b32 s61, 0xfffeffff, s61                             // 000000005780: 863D3DFF FFFEFFFF
	v_cndmask_b32_e64 v59, v59, v178, s[60:61]                 // 000000005788: D100003B 00F3653B
	s_branch label_0685                                        // 000000005790: BF820020

0000000000005794 <label_0665>:
	v_mov_b32_e32 v56, v178                                    // 000000005794: 7E7003B2
	v_mov_b32_e32 v57, v178                                    // 000000005798: 7E7203B2
	v_mov_b32_e32 v58, v178                                    // 00000000579C: 7E7403B2
	v_mov_b32_e32 v59, v178                                    // 0000000057A0: 7E7603B2
	s_branch label_0685                                        // 0000000057A4: BF82001B

00000000000057a8 <label_066A>:
	v_cndmask_b32_e64 v60, v60, v178, s[60:61]                 // 0000000057A8: D100003C 00F3653C
	s_lshl_b32 s60, s60, 1                                     // 0000000057B0: 8E3C813C
	s_lshl_b32 s61, s61, 1                                     // 0000000057B4: 8E3D813D
	s_and_b32 s60, 0xfffeffff, s60                             // 0000000057B8: 863C3CFF FFFEFFFF
	s_and_b32 s61, 0xfffeffff, s61                             // 0000000057C0: 863D3DFF FFFEFFFF
	v_cndmask_b32_e64 v61, v61, v178, s[60:61]                 // 0000000057C8: D100003D 00F3653D
	s_lshl_b32 s60, s60, 1                                     // 0000000057D0: 8E3C813C
	s_lshl_b32 s61, s61, 1                                     // 0000000057D4: 8E3D813D
	s_and_b32 s60, 0xfffeffff, s60                             // 0000000057D8: 863C3CFF FFFEFFFF
	s_and_b32 s61, 0xfffeffff, s61                             // 0000000057E0: 863D3DFF FFFEFFFF
	v_cndmask_b32_e64 v62, v62, v178, s[60:61]                 // 0000000057E8: D100003E 00F3653E
	s_lshl_b32 s60, s60, 1                                     // 0000000057F0: 8E3C813C
	s_lshl_b32 s61, s61, 1                                     // 0000000057F4: 8E3D813D
	s_and_b32 s60, 0xfffeffff, s60                             // 0000000057F8: 863C3CFF FFFEFFFF
	s_and_b32 s61, 0xfffeffff, s61                             // 000000005800: 863D3DFF FFFEFFFF
	v_cndmask_b32_e64 v63, v63, v178, s[60:61]                 // 000000005808: D100003F 00F3653F
	s_branch label_068A                                        // 000000005810: BF820005

0000000000005814 <label_0685>:
	v_mov_b32_e32 v60, v178                                    // 000000005814: 7E7803B2
	v_mov_b32_e32 v61, v178                                    // 000000005818: 7E7A03B2
	v_mov_b32_e32 v62, v178                                    // 00000000581C: 7E7C03B2
	v_mov_b32_e32 v63, v178                                    // 000000005820: 7E7E03B2
	s_branch label_068A                                        // 000000005824: BF820000

0000000000005828 <label_068A>:
	s_addk_i32 s74, 0x1                                        // 000000005828: B74A0001
	s_add_u32 s62, 0, s47                                      // 00000000582C: 803E2F80
	s_cmp_lt_i32 s74, s62                                      // 000000005830: BF043E4A
	s_cbranch_scc1 label_06B6                                  // 000000005834: BF850028
	s_cmp_eq_i32 s74, s62                                      // 000000005838: BF003E4A
	s_cbranch_scc1 label_069B                                  // 00000000583C: BF85000B
	s_add_u32 s62, 4, s47                                      // 000000005840: 803E2F84
	s_cmp_lt_i32 s74, s62                                      // 000000005844: BF043E4A
	s_cbranch_scc1 label_06D6                                  // 000000005848: BF850043
	s_cmp_eq_i32 s74, s62                                      // 00000000584C: BF003E4A
	s_cbranch_scc1 label_06BB                                  // 000000005850: BF850026
	s_add_u32 s62, 8, s47                                      // 000000005854: 803E2F88
	s_cmp_lt_i32 s74, s62                                      // 000000005858: BF043E4A
	s_cbranch_scc1 label_06F6                                  // 00000000585C: BF85005E
	s_cmp_eq_i32 s74, s62                                      // 000000005860: BF003E4A
	s_cbranch_scc1 label_06DB                                  // 000000005864: BF850041
	s_branch label_06FB                                        // 000000005868: BF820060

000000000000586c <label_069B>:
	v_cndmask_b32_e64 v64, v64, v178, s[60:61]                 // 00000000586C: D1000040 00F36540
	s_lshl_b32 s60, s60, 1                                     // 000000005874: 8E3C813C
	s_lshl_b32 s61, s61, 1                                     // 000000005878: 8E3D813D
	s_and_b32 s60, 0xfffeffff, s60                             // 00000000587C: 863C3CFF FFFEFFFF
	s_and_b32 s61, 0xfffeffff, s61                             // 000000005884: 863D3DFF FFFEFFFF
	v_cndmask_b32_e64 v65, v65, v178, s[60:61]                 // 00000000588C: D1000041 00F36541
	s_lshl_b32 s60, s60, 1                                     // 000000005894: 8E3C813C
	s_lshl_b32 s61, s61, 1                                     // 000000005898: 8E3D813D
	s_and_b32 s60, 0xfffeffff, s60                             // 00000000589C: 863C3CFF FFFEFFFF
	s_and_b32 s61, 0xfffeffff, s61                             // 0000000058A4: 863D3DFF FFFEFFFF
	v_cndmask_b32_e64 v66, v66, v178, s[60:61]                 // 0000000058AC: D1000042 00F36542
	s_lshl_b32 s60, s60, 1                                     // 0000000058B4: 8E3C813C
	s_lshl_b32 s61, s61, 1                                     // 0000000058B8: 8E3D813D
	s_and_b32 s60, 0xfffeffff, s60                             // 0000000058BC: 863C3CFF FFFEFFFF
	s_and_b32 s61, 0xfffeffff, s61                             // 0000000058C4: 863D3DFF FFFEFFFF
	v_cndmask_b32_e64 v67, v67, v178, s[60:61]                 // 0000000058CC: D1000043 00F36543
	s_branch label_06D6                                        // 0000000058D4: BF820020

00000000000058d8 <label_06B6>:
	v_mov_b32_e32 v64, v178                                    // 0000000058D8: 7E8003B2
	v_mov_b32_e32 v65, v178                                    // 0000000058DC: 7E8203B2
	v_mov_b32_e32 v66, v178                                    // 0000000058E0: 7E8403B2
	v_mov_b32_e32 v67, v178                                    // 0000000058E4: 7E8603B2
	s_branch label_06D6                                        // 0000000058E8: BF82001B

00000000000058ec <label_06BB>:
	v_cndmask_b32_e64 v68, v68, v178, s[60:61]                 // 0000000058EC: D1000044 00F36544
	s_lshl_b32 s60, s60, 1                                     // 0000000058F4: 8E3C813C
	s_lshl_b32 s61, s61, 1                                     // 0000000058F8: 8E3D813D
	s_and_b32 s60, 0xfffeffff, s60                             // 0000000058FC: 863C3CFF FFFEFFFF
	s_and_b32 s61, 0xfffeffff, s61                             // 000000005904: 863D3DFF FFFEFFFF
	v_cndmask_b32_e64 v69, v69, v178, s[60:61]                 // 00000000590C: D1000045 00F36545
	s_lshl_b32 s60, s60, 1                                     // 000000005914: 8E3C813C
	s_lshl_b32 s61, s61, 1                                     // 000000005918: 8E3D813D
	s_and_b32 s60, 0xfffeffff, s60                             // 00000000591C: 863C3CFF FFFEFFFF
	s_and_b32 s61, 0xfffeffff, s61                             // 000000005924: 863D3DFF FFFEFFFF
	v_cndmask_b32_e64 v70, v70, v178, s[60:61]                 // 00000000592C: D1000046 00F36546
	s_lshl_b32 s60, s60, 1                                     // 000000005934: 8E3C813C
	s_lshl_b32 s61, s61, 1                                     // 000000005938: 8E3D813D
	s_and_b32 s60, 0xfffeffff, s60                             // 00000000593C: 863C3CFF FFFEFFFF
	s_and_b32 s61, 0xfffeffff, s61                             // 000000005944: 863D3DFF FFFEFFFF
	v_cndmask_b32_e64 v71, v71, v178, s[60:61]                 // 00000000594C: D1000047 00F36547
	s_branch label_06F6                                        // 000000005954: BF820020

0000000000005958 <label_06D6>:
	v_mov_b32_e32 v68, v178                                    // 000000005958: 7E8803B2
	v_mov_b32_e32 v69, v178                                    // 00000000595C: 7E8A03B2
	v_mov_b32_e32 v70, v178                                    // 000000005960: 7E8C03B2
	v_mov_b32_e32 v71, v178                                    // 000000005964: 7E8E03B2
	s_branch label_06F6                                        // 000000005968: BF82001B

000000000000596c <label_06DB>:
	v_cndmask_b32_e64 v72, v72, v178, s[60:61]                 // 00000000596C: D1000048 00F36548
	s_lshl_b32 s60, s60, 1                                     // 000000005974: 8E3C813C
	s_lshl_b32 s61, s61, 1                                     // 000000005978: 8E3D813D
	s_and_b32 s60, 0xfffeffff, s60                             // 00000000597C: 863C3CFF FFFEFFFF
	s_and_b32 s61, 0xfffeffff, s61                             // 000000005984: 863D3DFF FFFEFFFF
	v_cndmask_b32_e64 v73, v73, v178, s[60:61]                 // 00000000598C: D1000049 00F36549
	s_lshl_b32 s60, s60, 1                                     // 000000005994: 8E3C813C
	s_lshl_b32 s61, s61, 1                                     // 000000005998: 8E3D813D
	s_and_b32 s60, 0xfffeffff, s60                             // 00000000599C: 863C3CFF FFFEFFFF
	s_and_b32 s61, 0xfffeffff, s61                             // 0000000059A4: 863D3DFF FFFEFFFF
	v_cndmask_b32_e64 v74, v74, v178, s[60:61]                 // 0000000059AC: D100004A 00F3654A
	s_lshl_b32 s60, s60, 1                                     // 0000000059B4: 8E3C813C
	s_lshl_b32 s61, s61, 1                                     // 0000000059B8: 8E3D813D
	s_and_b32 s60, 0xfffeffff, s60                             // 0000000059BC: 863C3CFF FFFEFFFF
	s_and_b32 s61, 0xfffeffff, s61                             // 0000000059C4: 863D3DFF FFFEFFFF
	v_cndmask_b32_e64 v75, v75, v178, s[60:61]                 // 0000000059CC: D100004B 00F3654B
	s_branch label_06FB                                        // 0000000059D4: BF820005

00000000000059d8 <label_06F6>:
	v_mov_b32_e32 v72, v178                                    // 0000000059D8: 7E9003B2
	v_mov_b32_e32 v73, v178                                    // 0000000059DC: 7E9203B2
	v_mov_b32_e32 v74, v178                                    // 0000000059E0: 7E9403B2
	v_mov_b32_e32 v75, v178                                    // 0000000059E4: 7E9603B2
	s_branch label_06FB                                        // 0000000059E8: BF820000

00000000000059ec <label_06FB>:
	s_addk_i32 s74, 0x1                                        // 0000000059EC: B74A0001
	s_waitcnt lgkmcnt(8)                                       // 0000000059F0: BF8CC87F
	s_barrier                                                  // 0000000059F4: BF8A0000
	v_mfma_f32_16x16x16_bf16 v[76:79], v[108:109], a[72:73], 0 // 0000000059F8: D3E1004C 1202916C
	ds_read_b128 a[96:99], v18 offset:4352                     // 000000005A00: DBFE1100 60000012
	ds_read_b128 a[100:103], v18 offset:4864                   // 000000005A08: DBFE1300 64000012
	v_mfma_f32_16x16x16_bf16 v[76:79], v[110:111], a[74:75], v[76:79]// 000000005A10: D3E1004C 1532956E
	v_fma_f32 v52, v52, s57, -v140                             // 000000005A18: D1CB0034 86307334
	v_fma_f32 v53, v53, s57, -v141                             // 000000005A20: D1CB0035 86347335
	v_fma_f32 v54, v54, s57, -v142                             // 000000005A28: D1CB0036 86387336
	v_fma_f32 v55, v55, s57, -v143                             // 000000005A30: D1CB0037 863C7337
	v_fma_f32 v56, v56, s57, -v140                             // 000000005A38: D1CB0038 86307338
	v_fma_f32 v57, v57, s57, -v141                             // 000000005A40: D1CB0039 86347339
	v_mfma_f32_16x16x16_bf16 v[76:79], v[112:113], a[76:77], v[76:79]// 000000005A48: D3E1004C 15329970
	v_fma_f32 v58, v58, s57, -v142                             // 000000005A50: D1CB003A 8638733A
	v_fma_f32 v59, v59, s57, -v143                             // 000000005A58: D1CB003B 863C733B
	v_fma_f32 v60, v60, s57, -v140                             // 000000005A60: D1CB003C 8630733C
	v_fma_f32 v61, v61, s57, -v141                             // 000000005A68: D1CB003D 8634733D
	v_fma_f32 v62, v62, s57, -v142                             // 000000005A70: D1CB003E 8638733E
	v_fma_f32 v63, v63, s57, -v143                             // 000000005A78: D1CB003F 863C733F
	v_mfma_f32_16x16x16_bf16 v[76:79], v[114:115], a[78:79], v[76:79]// 000000005A80: D3E1004C 15329D72
	v_fma_f32 v64, v64, s57, -v144                             // 000000005A88: D1CB0040 86407340
	v_fma_f32 v65, v65, s57, -v145                             // 000000005A90: D1CB0041 86447341
	v_fma_f32 v66, v66, s57, -v146                             // 000000005A98: D1CB0042 86487342
	v_fma_f32 v67, v67, s57, -v147                             // 000000005AA0: D1CB0043 864C7343
	v_fma_f32 v68, v68, s57, -v144                             // 000000005AA8: D1CB0044 86407344
	v_fma_f32 v69, v69, s57, -v145                             // 000000005AB0: D1CB0045 86447345
	v_mfma_f32_16x16x16_bf16 v[80:83], v[108:109], a[80:81], 0 // 000000005AB8: D3E10050 1202A16C
	ds_read_b128 a[104:107], v18 offset:6528                   // 000000005AC0: DBFE1980 68000012
	ds_read_b128 a[108:111], v18 offset:7040                   // 000000005AC8: DBFE1B80 6C000012
	v_mfma_f32_16x16x16_bf16 v[80:83], v[110:111], a[82:83], v[80:83]// 000000005AD0: D3E10050 1542A56E
	v_fma_f32 v70, v70, s57, -v146                             // 000000005AD8: D1CB0046 86487346
	v_fma_f32 v71, v71, s57, -v147                             // 000000005AE0: D1CB0047 864C7347
	v_fma_f32 v72, v72, s57, -v144                             // 000000005AE8: D1CB0048 86407348
	v_fma_f32 v73, v73, s57, -v145                             // 000000005AF0: D1CB0049 86447349
	v_fma_f32 v74, v74, s57, -v146                             // 000000005AF8: D1CB004A 8648734A
	v_fma_f32 v75, v75, s57, -v147                             // 000000005B00: D1CB004B 864C734B
	v_mfma_f32_16x16x16_bf16 v[80:83], v[112:113], a[84:85], v[80:83]// 000000005B08: D3E10050 1542A970
	v_exp_f32_e32 v52, v52                                     // 000000005B10: 7E684134
	v_exp_f32_e32 v53, v53                                     // 000000005B14: 7E6A4135
	v_mfma_f32_16x16x16_bf16 v[80:83], v[114:115], a[86:87], v[80:83]// 000000005B18: D3E10050 1542AD72
	v_exp_f32_e32 v54, v54                                     // 000000005B20: 7E6C4136
	v_exp_f32_e32 v55, v55                                     // 000000005B24: 7E6E4137
	v_mfma_f32_16x16x16_bf16 v[84:87], v[108:109], a[88:89], 0 // 000000005B28: D3E10054 1202B16C
	ds_read_b32 v156, v25 offset:31232                         // 000000005B30: D86C7A00 9C000019
	ds_read_b32 v157, v25 offset:31248                         // 000000005B38: D86C7A10 9D000019
	v_mfma_f32_16x16x16_bf16 v[84:87], v[110:111], a[90:91], v[84:87]// 000000005B40: D3E10054 1552B56E
	v_exp_f32_e32 v56, v56                                     // 000000005B48: 7E704138
	v_exp_f32_e32 v57, v57                                     // 000000005B4C: 7E724139
	v_mfma_f32_16x16x16_bf16 v[84:87], v[112:113], a[92:93], v[84:87]// 000000005B50: D3E10054 1552B970
	ds_read_b32 v158, v25 offset:31264                         // 000000005B58: D86C7A20 9E000019
	ds_read_b32 v159, v25 offset:31280                         // 000000005B60: D86C7A30 9F000019
	v_mfma_f32_16x16x16_bf16 v[84:87], v[114:115], a[94:95], v[84:87]// 000000005B68: D3E10054 1552BD72
	v_exp_f32_e32 v58, v58                                     // 000000005B70: 7E74413A
	v_exp_f32_e32 v59, v59                                     // 000000005B74: 7E76413B
	v_mfma_f32_16x16x16_bf16 v[88:91], v[116:117], a[72:73], 0 // 000000005B78: D3E10058 12029174
	v_exp_f32_e32 v60, v60                                     // 000000005B80: 7E78413C
	v_exp_f32_e32 v61, v61                                     // 000000005B84: 7E7A413D
	v_mfma_f32_16x16x16_bf16 v[88:91], v[118:119], a[74:75], v[88:91]// 000000005B88: D3E10058 15629576
	v_exp_f32_e32 v62, v62                                     // 000000005B90: 7E7C413E
	v_exp_f32_e32 v63, v63                                     // 000000005B94: 7E7E413F
	v_mfma_f32_16x16x16_bf16 v[88:91], v[120:121], a[76:77], v[88:91]// 000000005B98: D3E10058 15629978
	v_exp_f32_e32 v64, v64                                     // 000000005BA0: 7E804140
	v_exp_f32_e32 v65, v65                                     // 000000005BA4: 7E824141
	v_mfma_f32_16x16x16_bf16 v[88:91], v[122:123], a[78:79], v[88:91]// 000000005BA8: D3E10058 15629D7A
	v_exp_f32_e32 v66, v66                                     // 000000005BB0: 7E844142
	v_exp_f32_e32 v67, v67                                     // 000000005BB4: 7E864143
	v_mfma_f32_16x16x16_bf16 v[92:95], v[116:117], a[80:81], 0 // 000000005BB8: D3E1005C 1202A174
	v_exp_f32_e32 v68, v68                                     // 000000005BC0: 7E884144
	v_exp_f32_e32 v69, v69                                     // 000000005BC4: 7E8A4145
	v_mfma_f32_16x16x16_bf16 v[92:95], v[118:119], a[82:83], v[92:95]// 000000005BC8: D3E1005C 1572A576
	v_exp_f32_e32 v70, v70                                     // 000000005BD0: 7E8C4146
	v_exp_f32_e32 v71, v71                                     // 000000005BD4: 7E8E4147
	v_mfma_f32_16x16x16_bf16 v[92:95], v[120:121], a[84:85], v[92:95]// 000000005BD8: D3E1005C 1572A978
	v_exp_f32_e32 v72, v72                                     // 000000005BE0: 7E904148
	v_exp_f32_e32 v73, v73                                     // 000000005BE4: 7E924149
	v_mfma_f32_16x16x16_bf16 v[92:95], v[122:123], a[86:87], v[92:95]// 000000005BE8: D3E1005C 1572AD7A
	v_exp_f32_e32 v74, v74                                     // 000000005BF0: 7E94414A
	v_exp_f32_e32 v75, v75                                     // 000000005BF4: 7E96414B
	v_mfma_f32_16x16x16_bf16 v[96:99], v[116:117], a[88:89], 0 // 000000005BF8: D3E10060 1202B174
	v_perm_b32 v164, v53, v52, s64                             // 000000005C00: D1ED00A4 01026935
	v_perm_b32 v165, v55, v54, s64                             // 000000005C08: D1ED00A5 01026D37
	v_perm_b32 v166, v57, v56, s64                             // 000000005C10: D1ED00A6 01027139
	v_perm_b32 v167, v59, v58, s64                             // 000000005C18: D1ED00A7 0102753B
	v_perm_b32 v168, v61, v60, s64                             // 000000005C20: D1ED00A8 0102793D
	v_perm_b32 v169, v63, v62, s64                             // 000000005C28: D1ED00A9 01027D3F
	v_mfma_f32_16x16x16_bf16 v[96:99], v[118:119], a[90:91], v[96:99]// 000000005C30: D3E10060 1582B576
	v_perm_b32 v170, v65, v64, s64                             // 000000005C38: D1ED00AA 01028141
	v_perm_b32 v171, v67, v66, s64                             // 000000005C40: D1ED00AB 01028543
	v_perm_b32 v172, v69, v68, s64                             // 000000005C48: D1ED00AC 01028945
	v_perm_b32 v173, v71, v70, s64                             // 000000005C50: D1ED00AD 01028D47
	v_perm_b32 v174, v73, v72, s64                             // 000000005C58: D1ED00AE 01029149
	v_perm_b32 v175, v75, v74, s64                             // 000000005C60: D1ED00AF 0102954B
	v_mfma_f32_16x16x16_bf16 v[96:99], v[120:121], a[92:93], v[96:99]// 000000005C68: D3E10060 1582B978
	s_add_u32 s32, s66, s32                                    // 000000005C70: 80202042
	s_addc_u32 s33, 0, s33                                     // 000000005C74: 82212180
	v_mfma_f32_16x16x16_bf16 v[96:99], v[122:123], a[94:95], v[96:99]// 000000005C78: D3E10060 1582BD7A
	s_waitcnt lgkmcnt(0)                                       // 000000005C80: BF8CC07F
	s_barrier                                                  // 000000005C84: BF8A0000
	v_mfma_f32_16x16x16_bf16 v[180:183], v[124:125], v[164:165], v[180:183]// 000000005C88: D3E100B4 06D3497C
	v_subrev_f32_dpp v76, v176, v76 quad_perm:[0,0,0,0] row_mask:0xf bank_mask:0xf// 000000005C90: 069898FA FF0000B0
	v_subrev_f32_dpp v77, v176, v77 quad_perm:[1,1,1,1] row_mask:0xf bank_mask:0xf// 000000005C98: 069A9AFA FF0055B0
	v_subrev_f32_dpp v78, v176, v78 quad_perm:[2,2,2,2] row_mask:0xf bank_mask:0xf// 000000005CA0: 069C9CFA FF00AAB0
	v_subrev_f32_dpp v79, v176, v79 quad_perm:[3,3,3,3] row_mask:0xf bank_mask:0xf// 000000005CA8: 069E9EFA FF00FFB0
	v_subrev_f32_dpp v80, v176, v80 quad_perm:[0,0,0,0] row_mask:0xf bank_mask:0xf// 000000005CB0: 06A0A0FA FF0000B0
	v_subrev_f32_dpp v81, v176, v81 quad_perm:[1,1,1,1] row_mask:0xf bank_mask:0xf// 000000005CB8: 06A2A2FA FF0055B0
	v_mfma_f32_16x16x16_bf16 v[184:187], v[126:127], v[164:165], v[184:187]// 000000005CC0: D3E100B8 06E3497E
	v_subrev_f32_dpp v82, v176, v82 quad_perm:[2,2,2,2] row_mask:0xf bank_mask:0xf// 000000005CC8: 06A4A4FA FF00AAB0
	v_subrev_f32_dpp v83, v176, v83 quad_perm:[3,3,3,3] row_mask:0xf bank_mask:0xf// 000000005CD0: 06A6A6FA FF00FFB0
	v_subrev_f32_dpp v84, v176, v84 quad_perm:[0,0,0,0] row_mask:0xf bank_mask:0xf// 000000005CD8: 06A8A8FA FF0000B0
	v_subrev_f32_dpp v85, v176, v85 quad_perm:[1,1,1,1] row_mask:0xf bank_mask:0xf// 000000005CE0: 06AAAAFA FF0055B0
	v_subrev_f32_dpp v86, v176, v86 quad_perm:[2,2,2,2] row_mask:0xf bank_mask:0xf// 000000005CE8: 06ACACFA FF00AAB0
	v_subrev_f32_dpp v87, v176, v87 quad_perm:[3,3,3,3] row_mask:0xf bank_mask:0xf// 000000005CF0: 06AEAEFA FF00FFB0
	v_mfma_f32_16x16x16_bf16 v[188:191], v[128:129], v[164:165], v[188:191]// 000000005CF8: D3E100BC 06F34980
	v_mul_f32_e32 v76, v52, v76                                // 000000005D00: 0A989934
	v_mul_f32_e32 v77, v53, v77                                // 000000005D04: 0A9A9B35
	v_mul_f32_e32 v78, v54, v78                                // 000000005D08: 0A9C9D36
	v_mul_f32_e32 v79, v55, v79                                // 000000005D0C: 0A9E9F37
	v_mul_f32_e32 v80, v56, v80                                // 000000005D10: 0AA0A138
	v_mul_f32_e32 v81, v57, v81                                // 000000005D14: 0AA2A339
	v_mfma_f32_16x16x16_bf16 v[192:195], v[130:131], v[164:165], v[192:195]// 000000005D18: D3E100C0 07034982
	v_mul_f32_e32 v82, v58, v82                                // 000000005D20: 0AA4A53A
	v_mul_f32_e32 v83, v59, v83                                // 000000005D24: 0AA6A73B
	v_mul_f32_e32 v84, v60, v84                                // 000000005D28: 0AA8A93C
	v_mul_f32_e32 v85, v61, v85                                // 000000005D2C: 0AAAAB3D
	v_mul_f32_e32 v86, v62, v86                                // 000000005D30: 0AACAD3E
	v_mul_f32_e32 v87, v63, v87                                // 000000005D34: 0AAEAF3F
	v_mfma_f32_16x16x16_bf16 v[196:199], v[124:125], v[166:167], v[196:199]// 000000005D38: D3E100C4 07134D7C
	v_perm_b32 v76, v77, v76, s64                              // 000000005D40: D1ED004C 0102994D
	v_perm_b32 v77, v79, v78, s64                              // 000000005D48: D1ED004D 01029D4F
	v_perm_b32 v78, v81, v80, s64                              // 000000005D50: D1ED004E 0102A151
	v_perm_b32 v79, v83, v82, s64                              // 000000005D58: D1ED004F 0102A553
	v_perm_b32 v80, v85, v84, s64                              // 000000005D60: D1ED0050 0102A955
	v_perm_b32 v81, v87, v86, s64                              // 000000005D68: D1ED0051 0102AD57
	v_mfma_f32_16x16x16_bf16 v[200:203], v[126:127], v[166:167], v[200:203]// 000000005D70: D3E100C8 07234D7E
	v_mov_b32_dpp v22, v76 quad_perm:[1,0,3,2] row_mask:0xf bank_mask:0xf// 000000005D78: 7E2C02FA FF00B14C
	v_perm_b32 v52, v22, v76, v21                              // 000000005D80: D1ED0034 04569916
	v_mov_b32_dpp v22, v77 quad_perm:[1,0,3,2] row_mask:0xf bank_mask:0xf// 000000005D88: 7E2C02FA FF00B14D
	v_perm_b32 v53, v22, v77, v21                              // 000000005D90: D1ED0035 04569B16
	v_mov_b32_dpp v22, v78 quad_perm:[1,0,3,2] row_mask:0xf bank_mask:0xf// 000000005D98: 7E2C02FA FF00B14E
	v_perm_b32 v54, v22, v78, v21                              // 000000005DA0: D1ED0036 04569D16
	v_mfma_f32_16x16x16_bf16 v[204:207], v[128:129], v[166:167], v[204:207]// 000000005DA8: D3E100CC 07334D80
	v_mov_b32_dpp v22, v79 quad_perm:[1,0,3,2] row_mask:0xf bank_mask:0xf// 000000005DB0: 7E2C02FA FF00B14F
	v_perm_b32 v55, v22, v79, v21                              // 000000005DB8: D1ED0037 04569F16
	v_mov_b32_dpp v22, v80 quad_perm:[1,0,3,2] row_mask:0xf bank_mask:0xf// 000000005DC0: 7E2C02FA FF00B150
	v_perm_b32 v56, v22, v80, v21                              // 000000005DC8: D1ED0038 0456A116
	v_mov_b32_dpp v22, v81 quad_perm:[1,0,3,2] row_mask:0xf bank_mask:0xf// 000000005DD0: 7E2C02FA FF00B151
	v_perm_b32 v57, v22, v81, v21                              // 000000005DD8: D1ED0039 0456A316
	v_mfma_f32_16x16x16_bf16 v[208:211], v[130:131], v[166:167], v[208:211]// 000000005DE0: D3E100D0 07434D82
	ds_write_b32 v24, v52 offset:17408                         // 000000005DE8: D81A4400 00003418
	ds_write_b32 v24, v53 offset:17952                         // 000000005DF0: D81A4620 00003518
	v_mfma_f32_16x16x16_bf16 v[212:215], v[124:125], v[168:169], v[212:215]// 000000005DF8: D3E100D4 0753517C
	v_subrev_f32_dpp v88, v177, v88 quad_perm:[0,0,0,0] row_mask:0xf bank_mask:0xf// 000000005E00: 06B0B0FA FF0000B1
	v_subrev_f32_dpp v89, v177, v89 quad_perm:[1,1,1,1] row_mask:0xf bank_mask:0xf// 000000005E08: 06B2B2FA FF0055B1
	v_subrev_f32_dpp v90, v177, v90 quad_perm:[2,2,2,2] row_mask:0xf bank_mask:0xf// 000000005E10: 06B4B4FA FF00AAB1
	v_subrev_f32_dpp v91, v177, v91 quad_perm:[3,3,3,3] row_mask:0xf bank_mask:0xf// 000000005E18: 06B6B6FA FF00FFB1
	v_subrev_f32_dpp v92, v177, v92 quad_perm:[0,0,0,0] row_mask:0xf bank_mask:0xf// 000000005E20: 06B8B8FA FF0000B1
	v_subrev_f32_dpp v93, v177, v93 quad_perm:[1,1,1,1] row_mask:0xf bank_mask:0xf// 000000005E28: 06BABAFA FF0055B1
	v_mfma_f32_16x16x16_bf16 v[216:219], v[126:127], v[168:169], v[216:219]// 000000005E30: D3E100D8 0763517E
	ds_write_b32 v24, v54 offset:19712                         // 000000005E38: D81A4D00 00003618
	ds_write_b32 v24, v55 offset:20256                         // 000000005E40: D81A4F20 00003718
	v_mfma_f32_16x16x16_bf16 v[220:223], v[128:129], v[168:169], v[220:223]// 000000005E48: D3E100DC 07735180
	v_subrev_f32_dpp v94, v177, v94 quad_perm:[2,2,2,2] row_mask:0xf bank_mask:0xf// 000000005E50: 06BCBCFA FF00AAB1
	v_subrev_f32_dpp v95, v177, v95 quad_perm:[3,3,3,3] row_mask:0xf bank_mask:0xf// 000000005E58: 06BEBEFA FF00FFB1
	v_subrev_f32_dpp v96, v177, v96 quad_perm:[0,0,0,0] row_mask:0xf bank_mask:0xf// 000000005E60: 06C0C0FA FF0000B1
	v_subrev_f32_dpp v97, v177, v97 quad_perm:[1,1,1,1] row_mask:0xf bank_mask:0xf// 000000005E68: 06C2C2FA FF0055B1
	v_subrev_f32_dpp v98, v177, v98 quad_perm:[2,2,2,2] row_mask:0xf bank_mask:0xf// 000000005E70: 06C4C4FA FF00AAB1
	v_subrev_f32_dpp v99, v177, v99 quad_perm:[3,3,3,3] row_mask:0xf bank_mask:0xf// 000000005E78: 06C6C6FA FF00FFB1
	v_mfma_f32_16x16x16_bf16 v[224:227], v[130:131], v[168:169], v[224:227]// 000000005E80: D3E100E0 07835182
	ds_write_b32 v24, v56 offset:22016                         // 000000005E88: D81A5600 00003818
	ds_write_b32 v24, v57 offset:22560                         // 000000005E90: D81A5820 00003918
	v_mfma_f32_16x16x16_bf16 v[180:183], v[132:133], v[170:171], v[180:183]// 000000005E98: D3E100B4 06D35584
	v_mul_f32_e32 v88, v64, v88                                // 000000005EA0: 0AB0B140
	v_mul_f32_e32 v89, v65, v89                                // 000000005EA4: 0AB2B341
	v_mul_f32_e32 v90, v66, v90                                // 000000005EA8: 0AB4B542
	v_mul_f32_e32 v91, v67, v91                                // 000000005EAC: 0AB6B743
	v_mul_f32_e32 v92, v68, v92                                // 000000005EB0: 0AB8B944
	v_mul_f32_e32 v93, v69, v93                                // 000000005EB4: 0ABABB45
	v_mfma_f32_16x16x16_bf16 v[184:187], v[134:135], v[170:171], v[184:187]// 000000005EB8: D3E100B8 06E35586
	v_mul_f32_e32 v94, v70, v94                                // 000000005EC0: 0ABCBD46
	v_mul_f32_e32 v95, v71, v95                                // 000000005EC4: 0ABEBF47
	v_mul_f32_e32 v96, v72, v96                                // 000000005EC8: 0AC0C148
	v_mul_f32_e32 v97, v73, v97                                // 000000005ECC: 0AC2C349
	v_mul_f32_e32 v98, v74, v98                                // 000000005ED0: 0AC4C54A
	v_mul_f32_e32 v99, v75, v99                                // 000000005ED4: 0AC6C74B
	v_mfma_f32_16x16x16_bf16 v[188:191], v[136:137], v[170:171], v[188:191]// 000000005ED8: D3E100BC 06F35588
	v_perm_b32 v82, v89, v88, s64                              // 000000005EE0: D1ED0052 0102B159
	v_perm_b32 v83, v91, v90, s64                              // 000000005EE8: D1ED0053 0102B55B
	v_perm_b32 v84, v93, v92, s64                              // 000000005EF0: D1ED0054 0102B95D
	v_perm_b32 v85, v95, v94, s64                              // 000000005EF8: D1ED0055 0102BD5F
	v_perm_b32 v86, v97, v96, s64                              // 000000005F00: D1ED0056 0102C161
	v_perm_b32 v87, v99, v98, s64                              // 000000005F08: D1ED0057 0102C563
	v_mfma_f32_16x16x16_bf16 v[192:195], v[138:139], v[170:171], v[192:195]// 000000005F10: D3E100C0 0703558A
	v_mov_b32_dpp v22, v82 quad_perm:[1,0,3,2] row_mask:0xf bank_mask:0xf// 000000005F18: 7E2C02FA FF00B152
	v_perm_b32 v58, v22, v82, v21                              // 000000005F20: D1ED003A 0456A516
	v_mov_b32_dpp v22, v83 quad_perm:[1,0,3,2] row_mask:0xf bank_mask:0xf// 000000005F28: 7E2C02FA FF00B153
	v_perm_b32 v59, v22, v83, v21                              // 000000005F30: D1ED003B 0456A716
	v_mov_b32_dpp v22, v84 quad_perm:[1,0,3,2] row_mask:0xf bank_mask:0xf// 000000005F38: 7E2C02FA FF00B154
	v_perm_b32 v60, v22, v84, v21                              // 000000005F40: D1ED003C 0456A916
	v_mfma_f32_16x16x16_bf16 v[196:199], v[132:133], v[172:173], v[196:199]// 000000005F48: D3E100C4 07135984
	v_mov_b32_dpp v22, v85 quad_perm:[1,0,3,2] row_mask:0xf bank_mask:0xf// 000000005F50: 7E2C02FA FF00B155
	v_perm_b32 v61, v22, v85, v21                              // 000000005F58: D1ED003D 0456AB16
	v_mov_b32_dpp v22, v86 quad_perm:[1,0,3,2] row_mask:0xf bank_mask:0xf// 000000005F60: 7E2C02FA FF00B156
	v_perm_b32 v62, v22, v86, v21                              // 000000005F68: D1ED003E 0456AD16
	v_mov_b32_dpp v22, v87 quad_perm:[1,0,3,2] row_mask:0xf bank_mask:0xf// 000000005F70: 7E2C02FA FF00B157
	v_perm_b32 v63, v22, v87, v21                              // 000000005F78: D1ED003F 0456AF16
	v_mfma_f32_16x16x16_bf16 v[200:203], v[134:135], v[172:173], v[200:203]// 000000005F80: D3E100C8 07235986
	ds_write_b32 v24, v58 offset:24320                         // 000000005F88: D81A5F00 00003A18
	ds_write_b32 v24, v59 offset:24864                         // 000000005F90: D81A6120 00003B18
	v_mfma_f32_16x16x16_bf16 v[204:207], v[136:137], v[172:173], v[204:207]// 000000005F98: D3E100CC 07335988
	v_mfma_f32_16x16x16_bf16 v[208:211], v[138:139], v[172:173], v[208:211]// 000000005FA0: D3E100D0 0743598A
	ds_write_b32 v24, v60 offset:26624                         // 000000005FA8: D81A6800 00003C18
	ds_write_b32 v24, v61 offset:27168                         // 000000005FB0: D81A6A20 00003D18
	ds_write_b32 v24, v62 offset:28928                         // 000000005FB8: D81A7100 00003E18
	ds_write_b32 v24, v63 offset:29472                         // 000000005FC0: D81A7320 00003F18
	v_mfma_f32_16x16x16_bf16 v[212:215], v[132:133], v[174:175], v[212:215]// 000000005FC8: D3E100D4 07535D84
	v_mfma_f32_16x16x16_bf16 v[216:219], v[134:135], v[174:175], v[216:219]// 000000005FD0: D3E100D8 07635D86
	ds_write_b32 v19, v100 offset:4352                         // 000000005FD8: D81A1100 00006413
	ds_write_b32 v19, v101 offset:5408                         // 000000005FE0: D81A1520 00006513
	v_mfma_f32_16x16x16_bf16 v[220:223], v[136:137], v[174:175], v[220:223]// 000000005FE8: D3E100DC 07735D88
	s_nop 0                                                    // 000000005FF0: BF800000
	s_nop 0                                                    // 000000005FF4: BF800000
	s_nop 0                                                    // 000000005FF8: BF800000
	v_mfma_f32_16x16x16_bf16 v[224:227], v[138:139], v[174:175], v[224:227]// 000000005FFC: D3E100E0 07835D8A
	ds_write_b32 v19, v102 offset:6528                         // 000000006004: D81A1980 00006613
	ds_write_b32 v19, v103 offset:7584                         // 00000000600C: D81A1DA0 00006713
	s_barrier                                                  // 000000006014: BF8A0000
	v_mfma_f32_16x16x16_bf16 a[112:115], a[96:97], v[76:77], a[112:115]// 000000006018: D3E18070 0DC29960
	global_atomic_pk_add_bf16 v6, v156, s[32:33]               // 000000006020: DD488000 00209C06
	v_mfma_f32_16x16x16_bf16 a[116:119], a[98:99], v[76:77], a[116:119]// 000000006028: D3E18074 0DD29962
	ds_read_b32 v140, v27 offset:36096                         // 000000006030: D86C8D00 8C00001B
	ds_read_b32 v144, v27 offset:36160                         // 000000006038: D86C8D40 9000001B
	ds_read_b32 v176, v27 offset:36352                         // 000000006040: D86C8E00 B000001B
	ds_read_b32 v177, v27 offset:36416                         // 000000006048: D86C8E40 B100001B
	v_mfma_f32_16x16x16_bf16 a[120:123], a[100:101], v[76:77], a[120:123]// 000000006050: D3E18078 0DE29964
	s_waitcnt lgkmcnt(8)                                       // 000000006058: BF8CC87F
	s_barrier                                                  // 00000000605C: BF8A0000
	v_mfma_f32_16x16x16_bf16 a[124:127], a[102:103], v[76:77], a[124:127]// 000000006060: D3E1807C 0DF29966
	ds_read_b128 v[52:55], v23 offset:17408                    // 000000006068: D9FE4400 34000017
	v_mfma_f32_16x16x16_bf16 a[128:131], a[96:97], v[78:79], a[128:131]// 000000006070: D3E18080 0E029D60
	v_mfma_f32_16x16x16_bf16 a[132:135], a[98:99], v[78:79], a[132:135]// 000000006078: D3E18084 0E129D62
	ds_read_b128 v[56:59], v23 offset:18560                    // 000000006080: D9FE4880 38000017
	v_mfma_f32_16x16x16_bf16 a[136:139], a[100:101], v[78:79], a[136:139]// 000000006088: D3E18088 0E229D64
	global_atomic_pk_add_bf16 v8, v157, s[32:33]               // 000000006090: DD488000 00209D08
	v_mfma_f32_16x16x16_bf16 a[140:143], a[102:103], v[78:79], a[140:143]// 000000006098: D3E1808C 0E329D66
	ds_read_b128 v[60:63], v23 offset:19712                    // 0000000060A0: D9FE4D00 3C000017
	v_mfma_f32_16x16x16_bf16 a[144:147], a[96:97], v[80:81], a[144:147]// 0000000060A8: D3E18090 0E42A160
	v_mfma_f32_16x16x16_bf16 a[148:151], a[98:99], v[80:81], a[148:151]// 0000000060B0: D3E18094 0E52A162
	ds_read_b128 v[64:67], v23 offset:20864                    // 0000000060B8: D9FE5180 40000017
	v_mfma_f32_16x16x16_bf16 a[152:155], a[100:101], v[80:81], a[152:155]// 0000000060C0: D3E18098 0E62A164
	v_mfma_f32_16x16x16_bf16 a[156:159], a[102:103], v[80:81], a[156:159]// 0000000060C8: D3E1809C 0E72A166
	ds_read_b128 v[68:71], v23 offset:22016                    // 0000000060D0: D9FE5600 44000017
	v_mfma_f32_16x16x16_bf16 a[112:115], a[104:105], v[82:83], a[112:115]// 0000000060D8: D3E18070 0DC2A568
	global_atomic_pk_add_bf16 v10, v158, s[32:33]              // 0000000060E0: DD488000 00209E0A
	v_mfma_f32_16x16x16_bf16 a[116:119], a[106:107], v[82:83], a[116:119]// 0000000060E8: D3E18074 0DD2A56A
	ds_read_b128 v[72:75], v23 offset:23168                    // 0000000060F0: D9FE5A80 48000017
	v_mfma_f32_16x16x16_bf16 a[120:123], a[108:109], v[82:83], a[120:123]// 0000000060F8: D3E18078 0DE2A56C
	v_mfma_f32_16x16x16_bf16 a[124:127], a[110:111], v[82:83], a[124:127]// 000000006100: D3E1807C 0DF2A56E
	ds_write_b32 v19, v104 offset:13056                        // 000000006108: D81A3300 00006813
	v_mfma_f32_16x16x16_bf16 a[128:131], a[104:105], v[84:85], a[128:131]// 000000006110: D3E18080 0E02A968
	v_mfma_f32_16x16x16_bf16 a[132:135], a[106:107], v[84:85], a[132:135]// 000000006118: D3E18084 0E12A96A
	ds_write_b32 v19, v105 offset:14112                        // 000000006120: D81A3720 00006913
	v_mfma_f32_16x16x16_bf16 a[136:139], a[108:109], v[84:85], a[136:139]// 000000006128: D3E18088 0E22A96C
	global_atomic_pk_add_bf16 v12, v159, s[32:33]              // 000000006130: DD488000 00209F0C
	v_mfma_f32_16x16x16_bf16 a[140:143], a[110:111], v[84:85], a[140:143]// 000000006138: D3E1808C 0E32A96E
	ds_write_b32 v19, v106 offset:15232                        // 000000006140: D81A3B80 00006A13
	v_mfma_f32_16x16x16_bf16 a[144:147], a[104:105], v[86:87], a[144:147]// 000000006148: D3E18090 0E42AD68
	v_mfma_f32_16x16x16_bf16 a[148:151], a[106:107], v[86:87], a[148:151]// 000000006150: D3E18094 0E52AD6A
	ds_write_b32 v19, v107 offset:16288                        // 000000006158: D81A3FA0 00006B13
	v_mfma_f32_16x16x16_bf16 a[152:155], a[108:109], v[86:87], a[152:155]// 000000006160: D3E18098 0E62AD6C
	v_mfma_f32_16x16x16_bf16 a[156:159], a[110:111], v[86:87], a[156:159]// 000000006168: D3E1809C 0E72AD6E
	s_waitcnt vmcnt(4) lgkmcnt(4)                              // 000000006170: BF8C0474
	s_barrier                                                  // 000000006174: BF8A0000
	v_mfma_f32_16x16x16_bf16 v[148:151], a[24:25], v[52:53], 0 // 000000006178: D3E10094 0A026918
	v_mul_f32_e32 v140, s49, v140                              // 000000006180: 0B191831
	v_mul_f32_e32 v144, s49, v144                              // 000000006184: 0B212031
	s_nop 0                                                    // 000000006188: BF800000
	v_mfma_f32_16x16x16_bf16 v[148:151], a[28:29], v[54:55], v[148:151]// 00000000618C: D3E10094 0E526D1C
	ds_read_b128 a[96:99], v16                                 // 000000006194: DBFE0000 60000010
	buffer_load_dword v40, v1, s[8:11], 0 idxen                // 00000000619C: E0502000 80022801
	v_mfma_f32_16x16x16_bf16 v[148:151], a[32:33], v[56:57], v[148:151]// 0000000061A4: D3E10094 0E527120
	v_mfma_f32_16x16x16_bf16 v[148:151], a[36:37], v[58:59], v[148:151]// 0000000061AC: D3E10094 0E527524
	ds_read_b128 a[100:103], v16 offset:512                    // 0000000061B4: DBFE0200 64000010
	buffer_load_dword v41, v2, s[8:11], 0 idxen                // 0000000061BC: E0502000 80022902
	v_mfma_f32_16x16x16_bf16 v[148:151], a[40:41], v[60:61], v[148:151]// 0000000061C4: D3E10094 0E527928
	v_perm_b32 v100, v37, v36, s63                             // 0000000061CC: D1ED0064 00FE4925
	v_perm_b32 v101, v37, v36, s64                             // 0000000061D4: D1ED0065 01024925
	v_mfma_f32_16x16x16_bf16 v[148:151], a[44:45], v[62:63], v[148:151]// 0000000061DC: D3E10094 0E527D2C
	ds_read_b128 a[104:107], v16 offset:2176                   // 0000000061E4: DBFE0880 68000010
	buffer_load_dword v42, v3, s[8:11], 0 idxen                // 0000000061EC: E0502000 80022A03
	v_mfma_f32_16x16x16_bf16 v[148:151], a[48:49], v[64:65], v[148:151]// 0000000061F4: D3E10094 0E528130
	v_perm_b32 v102, v39, v38, s63                             // 0000000061FC: D1ED0066 00FE4D27
	v_perm_b32 v103, v39, v38, s64                             // 000000006204: D1ED0067 01024D27
	v_mfma_f32_16x16x16_bf16 v[148:151], a[52:53], v[66:67], v[148:151]// 00000000620C: D3E10094 0E528534
	ds_read_b128 a[108:111], v16 offset:2688                   // 000000006214: DBFE0A80 6C000010
	buffer_load_dword v43, v4, s[8:11], 0 idxen                // 00000000621C: E0502000 80022B04
	v_mfma_f32_16x16x16_bf16 v[148:151], a[56:57], v[68:69], v[148:151]// 000000006224: D3E10094 0E528938
	v_perm_b32 v104, v45, v44, s63                             // 00000000622C: D1ED0068 00FE592D
	v_perm_b32 v105, v45, v44, s64                             // 000000006234: D1ED0069 0102592D
	v_mfma_f32_16x16x16_bf16 v[148:151], a[60:61], v[70:71], v[148:151]// 00000000623C: D3E10094 0E528D3C
	ds_read_b128 v[108:111], v16 offset:8704                   // 000000006244: D9FE2200 6C000010
	buffer_load_dword v48, v1, s[20:23], 0 idxen               // 00000000624C: E0502000 80053001
	v_mfma_f32_16x16x16_bf16 v[148:151], a[64:65], v[72:73], v[148:151]// 000000006254: D3E10094 0E529140
	v_perm_b32 v106, v47, v46, s63                             // 00000000625C: D1ED006A 00FE5D2F
	v_perm_b32 v107, v47, v46, s64                             // 000000006264: D1ED006B 01025D2F
	v_mfma_f32_16x16x16_bf16 v[148:151], a[68:69], v[74:75], v[148:151]// 00000000626C: D3E10094 0E529544
	ds_read_b128 v[112:115], v16 offset:9216                   // 000000006274: D9FE2400 70000010
	buffer_load_dword v49, v2, s[20:23], 0 idxen               // 00000000627C: E0502000 80053102
	v_mfma_f32_16x16x16_bf16 v[152:155], a[26:27], v[52:53], 0 // 000000006284: D3E10098 0A02691A
	v_mov_b32_dpp v143, v140 quad_perm:[3,3,3,3] row_mask:0xf bank_mask:0xf// 00000000628C: 7F1E02FA FF00FF8C
	v_mov_b32_dpp v142, v140 quad_perm:[2,2,2,2] row_mask:0xf bank_mask:0xf// 000000006294: 7F1C02FA FF00AA8C
	v_mov_b32_dpp v141, v140 quad_perm:[1,1,1,1] row_mask:0xf bank_mask:0xf// 00000000629C: 7F1A02FA FF00558C
	v_mov_b32_dpp v140, v140 quad_perm:[0,0,0,0] row_mask:0xf bank_mask:0xf// 0000000062A4: 7F1802FA FF00008C
	v_mfma_f32_16x16x16_bf16 v[152:155], a[30:31], v[54:55], v[152:155]// 0000000062AC: D3E10098 0E626D1E
	ds_read_b128 v[116:119], v16 offset:10880                  // 0000000062B4: D9FE2A80 74000010
	buffer_load_dword v50, v3, s[20:23], 0 idxen               // 0000000062BC: E0502000 80053203
	v_mfma_f32_16x16x16_bf16 v[152:155], a[34:35], v[56:57], v[152:155]// 0000000062C4: D3E10098 0E627122
	v_mov_b32_dpp v147, v144 quad_perm:[3,3,3,3] row_mask:0xf bank_mask:0xf// 0000000062CC: 7F2602FA FF00FF90
	v_mov_b32_dpp v146, v144 quad_perm:[2,2,2,2] row_mask:0xf bank_mask:0xf// 0000000062D4: 7F2402FA FF00AA90
	v_mov_b32_dpp v145, v144 quad_perm:[1,1,1,1] row_mask:0xf bank_mask:0xf// 0000000062DC: 7F2202FA FF005590
	v_mov_b32_dpp v144, v144 quad_perm:[0,0,0,0] row_mask:0xf bank_mask:0xf// 0000000062E4: 7F2002FA FF000090
	s_add_u32 s60, 0x80, s59                                   // 0000000062EC: 803C3BFF 00000080
	v_mfma_f32_16x16x16_bf16 v[152:155], a[38:39], v[58:59], v[152:155]// 0000000062F4: D3E10098 0E627526
	ds_read_b128 v[120:123], v16 offset:11392                  // 0000000062FC: D9FE2C80 78000010
	buffer_load_dword v51, v4, s[20:23], 0 idxen               // 000000006304: E0502000 80053304
	v_mfma_f32_16x16x16_bf16 v[152:155], a[42:43], v[60:61], v[152:155]// 00000000630C: D3E10098 0E62792A
	s_cmp_lt_u32 s60, s58                                      // 000000006314: BF0A3A3C
	s_cselect_b32 s68, s68, 0                                  // 000000006318: 85448044
	s_cselect_b32 s69, s69, 0                                  // 00000000631C: 85458045
	v_mfma_f32_16x16x16_bf16 v[152:155], a[46:47], v[62:63], v[152:155]// 000000006320: D3E10098 0E627D2E
	buffer_load_dword v15, s[24:27], 0 idxen lds               // 000000006328: E0512000 8006000F
	v_mfma_f32_16x16x16_bf16 v[152:155], a[50:51], v[64:65], v[152:155]// 000000006330: D3E10098 0E628132
	s_add_u32 s8, s68, s8                                      // 000000006338: 80080844
	s_addc_u32 s9, 0, s9                                       // 00000000633C: 82090980
	v_mfma_f32_16x16x16_bf16 v[152:155], a[54:55], v[66:67], v[152:155]// 000000006340: D3E10098 0E628536
	s_add_u32 s20, s68, s20                                    // 000000006348: 80141444
	s_addc_u32 s21, 0, s21                                     // 00000000634C: 82151580
	v_mfma_f32_16x16x16_bf16 v[152:155], a[58:59], v[68:69], v[152:155]// 000000006350: D3E10098 0E62893A
	s_mov_b32 m0, s80                                          // 000000006358: BEFC0050
	v_add_u32_e32 v15, s69, v15                                // 00000000635C: 681E1E45
	v_mfma_f32_16x16x16_bf16 v[152:155], a[62:63], v[70:71], v[152:155]// 000000006360: D3E10098 0E628D3E
	s_cmp_ge_u32 s59, s73                                      // 000000006368: BF09493B
	s_cselect_b32 s66, s67, s66                                // 00000000636C: 85424243
	v_mfma_f32_16x16x16_bf16 v[152:155], a[66:67], v[72:73], v[152:155]// 000000006370: D3E10098 0E629142
	s_addk_i32 s59, 0x20                                       // 000000006378: B73B0020
	s_nop 0                                                    // 00000000637C: BF800000
	s_cmp_lt_i32 s59, s58                                      // 000000006380: BF043A3B
	v_mfma_f32_16x16x16_bf16 v[152:155], a[70:71], v[74:75], v[152:155]// 000000006384: D3E10098 0E629546
	s_cbranch_scc0 label_0D14                                  // 00000000638C: BF8403B0
	s_waitcnt lgkmcnt(4)                                       // 000000006390: BF8CC47F
	s_barrier                                                  // 000000006394: BF8A0000
	v_mfma_f32_16x16x16_bf16 v[52:55], a[96:97], a[0:1], 0     // 000000006398: D3E10034 1A020160
	ds_write_b32 v17, v44 offset:8704                          // 0000000063A0: D81A2200 00002C11
	ds_write_b32 v17, v45 offset:9760                          // 0000000063A8: D81A2620 00002D11
	v_mfma_f32_16x16x16_bf16 v[52:55], a[98:99], a[2:3], v[52:55]// 0000000063B0: D3E10034 1CD20562
	v_mul_f32_e32 v148, s48, v148                              // 0000000063B8: 0B292830
	v_mul_f32_e32 v149, s48, v149                              // 0000000063BC: 0B2B2A30
	v_mfma_f32_16x16x16_bf16 v[52:55], a[100:101], a[4:5], v[52:55]// 0000000063C0: D3E10034 1CD20964
	ds_write_b32 v17, v46 offset:10880                         // 0000000063C8: D81A2A80 00002E11
	ds_write_b32 v17, v47 offset:11936                         // 0000000063D0: D81A2EA0 00002F11
	v_mfma_f32_16x16x16_bf16 v[52:55], a[102:103], a[6:7], v[52:55]// 0000000063D8: D3E10034 1CD20D66
	v_mul_f32_e32 v150, s48, v150                              // 0000000063E0: 0B2D2C30
	v_mul_f32_e32 v151, s48, v151                              // 0000000063E4: 0B2F2E30
	v_mfma_f32_16x16x16_bf16 v[56:59], a[96:97], a[8:9], 0     // 0000000063E8: D3E10038 1A021160
	v_mul_f32_e32 v152, s48, v152                              // 0000000063F0: 0B313030
	v_mul_f32_e32 v153, s48, v153                              // 0000000063F4: 0B333230
	v_mfma_f32_16x16x16_bf16 v[56:59], a[98:99], a[10:11], v[56:59]// 0000000063F8: D3E10038 1CE21562
	v_mul_f32_e32 v154, s48, v154                              // 000000006400: 0B353430
	v_mul_f32_e32 v155, s48, v155                              // 000000006404: 0B373630
	v_mfma_f32_16x16x16_bf16 v[56:59], a[100:101], a[12:13], v[56:59]// 000000006408: D3E10038 1CE21964
	v_perm_b32 v148, v149, v148, s64                           // 000000006410: D1ED0094 01032995
	v_perm_b32 v149, v151, v150, s64                           // 000000006418: D1ED0095 01032D97
	v_mfma_f32_16x16x16_bf16 v[56:59], a[102:103], a[14:15], v[56:59]// 000000006420: D3E10038 1CE21D66
	v_perm_b32 v150, v153, v152, s64                           // 000000006428: D1ED0096 01033199
	v_perm_b32 v151, v155, v154, s64                           // 000000006430: D1ED0097 0103359B
	v_mfma_f32_16x16x16_bf16 v[60:63], a[96:97], a[16:17], 0   // 000000006438: D3E1003C 1A022160
	ds_write_b64 v26, v[148:149] offset:31232                  // 000000006440: D89A7A00 0000941A
	v_mfma_f32_16x16x16_bf16 v[60:63], a[98:99], a[18:19], v[60:63]// 000000006448: D3E1003C 1CF22562
	v_mfma_f32_16x16x16_bf16 v[60:63], a[100:101], a[20:21], v[60:63]// 000000006450: D3E1003C 1CF22964
	ds_write_b64 v26, v[150:151] offset:31776                  // 000000006458: D89A7C20 0000961A
	v_mfma_f32_16x16x16_bf16 v[60:63], a[102:103], a[22:23], v[60:63]// 000000006460: D3E1003C 1CF22D66
	v_mfma_f32_16x16x16_bf16 v[64:67], a[104:105], a[0:1], 0   // 000000006468: D3E10040 1A020168
	ds_read_b128 v[124:127], v18 offset:13056                  // 000000006470: D9FE3300 7C000012
	ds_write_b32 v17, v36                                      // 000000006478: D81A0000 00002411
	v_mfma_f32_16x16x16_bf16 v[64:67], a[106:107], a[2:3], v[64:67]// 000000006480: D3E10040 1D02056A
	v_mfma_f32_16x16x16_bf16 v[64:67], a[108:109], a[4:5], v[64:67]// 000000006488: D3E10040 1D02096C
	v_mfma_f32_16x16x16_bf16 v[64:67], a[110:111], a[6:7], v[64:67]// 000000006490: D3E10040 1D020D6E
	ds_read_b128 v[128:131], v18 offset:13568                  // 000000006498: D9FE3500 80000012
	ds_write_b32 v17, v37 offset:1056                          // 0000000064A0: D81A0420 00002511
	v_mfma_f32_16x16x16_bf16 v[68:71], a[104:105], a[8:9], 0   // 0000000064A8: D3E10044 1A021168
	v_mfma_f32_16x16x16_bf16 v[68:71], a[106:107], a[10:11], v[68:71]// 0000000064B0: D3E10044 1D12156A
	v_mfma_f32_16x16x16_bf16 v[68:71], a[108:109], a[12:13], v[68:71]// 0000000064B8: D3E10044 1D12196C
	ds_read_b128 v[132:135], v18 offset:15232                  // 0000000064C0: D9FE3B80 84000012
	ds_write_b32 v17, v38 offset:2176                          // 0000000064C8: D81A0880 00002611
	v_mfma_f32_16x16x16_bf16 v[68:71], a[110:111], a[14:15], v[68:71]// 0000000064D0: D3E10044 1D121D6E
	v_mfma_f32_16x16x16_bf16 v[72:75], a[104:105], a[16:17], 0 // 0000000064D8: D3E10048 1A022168
	v_mfma_f32_16x16x16_bf16 v[72:75], a[106:107], a[18:19], v[72:75]// 0000000064E0: D3E10048 1D22256A
	ds_read_b128 v[136:139], v18 offset:15744                  // 0000000064E8: D9FE3D80 88000012
	ds_write_b32 v17, v39 offset:3232                          // 0000000064F0: D81A0CA0 00002711
	v_mfma_f32_16x16x16_bf16 v[72:75], a[108:109], a[20:21], v[72:75]// 0000000064F8: D3E10048 1D22296C
	v_mfma_f32_16x16x16_bf16 v[72:75], a[110:111], a[22:23], v[72:75]// 000000006500: D3E10048 1D222D6E
	s_cmp_lt_i32 s74, 12                                       // 000000006508: BF048C4A
	s_cbranch_scc0 label_0AAA                                  // 00000000650C: BF8400E6
	s_mov_b32 s60, 0xffe0fffe                                  // 000000006510: BEBC00FF FFE0FFFE
	s_mov_b32 s61, 0xe000fe00                                  // 000000006518: BEBD00FF E000FE00
	s_nop 0                                                    // 000000006520: BF800000
	s_add_u32 s62, 0, s47                                      // 000000006524: 803E2F80
	s_cmp_lt_i32 s74, s62                                      // 000000006528: BF043E4A
	s_cbranch_scc1 label_09F4                                  // 00000000652C: BF850028
	s_cmp_eq_i32 s74, s62                                      // 000000006530: BF003E4A
	s_cbranch_scc1 label_09D9                                  // 000000006534: BF85000B
	s_add_u32 s62, 4, s47                                      // 000000006538: 803E2F84
	s_cmp_lt_i32 s74, s62                                      // 00000000653C: BF043E4A
	s_cbranch_scc1 label_0A14                                  // 000000006540: BF850043
	s_cmp_eq_i32 s74, s62                                      // 000000006544: BF003E4A
	s_cbranch_scc1 label_09F9                                  // 000000006548: BF850026
	s_add_u32 s62, 8, s47                                      // 00000000654C: 803E2F88
	s_cmp_lt_i32 s74, s62                                      // 000000006550: BF043E4A
	s_cbranch_scc1 label_0A34                                  // 000000006554: BF85005E
	s_cmp_eq_i32 s74, s62                                      // 000000006558: BF003E4A
	s_cbranch_scc1 label_0A19                                  // 00000000655C: BF850041
	s_branch label_0A39                                        // 000000006560: BF820060

0000000000006564 <label_09D9>:
	v_cndmask_b32_e64 v52, v52, v178, s[60:61]                 // 000000006564: D1000034 00F36534
	s_lshl_b32 s60, s60, 1                                     // 00000000656C: 8E3C813C
	s_lshl_b32 s61, s61, 1                                     // 000000006570: 8E3D813D
	s_and_b32 s60, 0xfffeffff, s60                             // 000000006574: 863C3CFF FFFEFFFF
	s_and_b32 s61, 0xfffeffff, s61                             // 00000000657C: 863D3DFF FFFEFFFF
	v_cndmask_b32_e64 v53, v53, v178, s[60:61]                 // 000000006584: D1000035 00F36535
	s_lshl_b32 s60, s60, 1                                     // 00000000658C: 8E3C813C
	s_lshl_b32 s61, s61, 1                                     // 000000006590: 8E3D813D
	s_and_b32 s60, 0xfffeffff, s60                             // 000000006594: 863C3CFF FFFEFFFF
	s_and_b32 s61, 0xfffeffff, s61                             // 00000000659C: 863D3DFF FFFEFFFF
	v_cndmask_b32_e64 v54, v54, v178, s[60:61]                 // 0000000065A4: D1000036 00F36536
	s_lshl_b32 s60, s60, 1                                     // 0000000065AC: 8E3C813C
	s_lshl_b32 s61, s61, 1                                     // 0000000065B0: 8E3D813D
	s_and_b32 s60, 0xfffeffff, s60                             // 0000000065B4: 863C3CFF FFFEFFFF
	s_and_b32 s61, 0xfffeffff, s61                             // 0000000065BC: 863D3DFF FFFEFFFF
	v_cndmask_b32_e64 v55, v55, v178, s[60:61]                 // 0000000065C4: D1000037 00F36537
	s_branch label_0A14                                        // 0000000065CC: BF820020

00000000000065d0 <label_09F4>:
	v_mov_b32_e32 v52, v178                                    // 0000000065D0: 7E6803B2
	v_mov_b32_e32 v53, v178                                    // 0000000065D4: 7E6A03B2
	v_mov_b32_e32 v54, v178                                    // 0000000065D8: 7E6C03B2
	v_mov_b32_e32 v55, v178                                    // 0000000065DC: 7E6E03B2
	s_branch label_0A14                                        // 0000000065E0: BF82001B

00000000000065e4 <label_09F9>:
	v_cndmask_b32_e64 v56, v56, v178, s[60:61]                 // 0000000065E4: D1000038 00F36538
	s_lshl_b32 s60, s60, 1                                     // 0000000065EC: 8E3C813C
	s_lshl_b32 s61, s61, 1                                     // 0000000065F0: 8E3D813D
	s_and_b32 s60, 0xfffeffff, s60                             // 0000000065F4: 863C3CFF FFFEFFFF
	s_and_b32 s61, 0xfffeffff, s61                             // 0000000065FC: 863D3DFF FFFEFFFF
	v_cndmask_b32_e64 v57, v57, v178, s[60:61]                 // 000000006604: D1000039 00F36539
	s_lshl_b32 s60, s60, 1                                     // 00000000660C: 8E3C813C
	s_lshl_b32 s61, s61, 1                                     // 000000006610: 8E3D813D
	s_and_b32 s60, 0xfffeffff, s60                             // 000000006614: 863C3CFF FFFEFFFF
	s_and_b32 s61, 0xfffeffff, s61                             // 00000000661C: 863D3DFF FFFEFFFF
	v_cndmask_b32_e64 v58, v58, v178, s[60:61]                 // 000000006624: D100003A 00F3653A
	s_lshl_b32 s60, s60, 1                                     // 00000000662C: 8E3C813C
	s_lshl_b32 s61, s61, 1                                     // 000000006630: 8E3D813D
	s_and_b32 s60, 0xfffeffff, s60                             // 000000006634: 863C3CFF FFFEFFFF
	s_and_b32 s61, 0xfffeffff, s61                             // 00000000663C: 863D3DFF FFFEFFFF
	v_cndmask_b32_e64 v59, v59, v178, s[60:61]                 // 000000006644: D100003B 00F3653B
	s_branch label_0A34                                        // 00000000664C: BF820020

0000000000006650 <label_0A14>:
	v_mov_b32_e32 v56, v178                                    // 000000006650: 7E7003B2
	v_mov_b32_e32 v57, v178                                    // 000000006654: 7E7203B2
	v_mov_b32_e32 v58, v178                                    // 000000006658: 7E7403B2
	v_mov_b32_e32 v59, v178                                    // 00000000665C: 7E7603B2
	s_branch label_0A34                                        // 000000006660: BF82001B

0000000000006664 <label_0A19>:
	v_cndmask_b32_e64 v60, v60, v178, s[60:61]                 // 000000006664: D100003C 00F3653C
	s_lshl_b32 s60, s60, 1                                     // 00000000666C: 8E3C813C
	s_lshl_b32 s61, s61, 1                                     // 000000006670: 8E3D813D
	s_and_b32 s60, 0xfffeffff, s60                             // 000000006674: 863C3CFF FFFEFFFF
	s_and_b32 s61, 0xfffeffff, s61                             // 00000000667C: 863D3DFF FFFEFFFF
	v_cndmask_b32_e64 v61, v61, v178, s[60:61]                 // 000000006684: D100003D 00F3653D
	s_lshl_b32 s60, s60, 1                                     // 00000000668C: 8E3C813C
	s_lshl_b32 s61, s61, 1                                     // 000000006690: 8E3D813D
	s_and_b32 s60, 0xfffeffff, s60                             // 000000006694: 863C3CFF FFFEFFFF
	s_and_b32 s61, 0xfffeffff, s61                             // 00000000669C: 863D3DFF FFFEFFFF
	v_cndmask_b32_e64 v62, v62, v178, s[60:61]                 // 0000000066A4: D100003E 00F3653E
	s_lshl_b32 s60, s60, 1                                     // 0000000066AC: 8E3C813C
	s_lshl_b32 s61, s61, 1                                     // 0000000066B0: 8E3D813D
	s_and_b32 s60, 0xfffeffff, s60                             // 0000000066B4: 863C3CFF FFFEFFFF
	s_and_b32 s61, 0xfffeffff, s61                             // 0000000066BC: 863D3DFF FFFEFFFF
	v_cndmask_b32_e64 v63, v63, v178, s[60:61]                 // 0000000066C4: D100003F 00F3653F
	s_branch label_0A39                                        // 0000000066CC: BF820005

00000000000066d0 <label_0A34>:
	v_mov_b32_e32 v60, v178                                    // 0000000066D0: 7E7803B2
	v_mov_b32_e32 v61, v178                                    // 0000000066D4: 7E7A03B2
	v_mov_b32_e32 v62, v178                                    // 0000000066D8: 7E7C03B2
	v_mov_b32_e32 v63, v178                                    // 0000000066DC: 7E7E03B2
	s_branch label_0A39                                        // 0000000066E0: BF820000

00000000000066e4 <label_0A39>:
	s_addk_i32 s74, 0x1                                        // 0000000066E4: B74A0001
	s_add_u32 s62, 0, s47                                      // 0000000066E8: 803E2F80
	s_cmp_lt_i32 s74, s62                                      // 0000000066EC: BF043E4A
	s_cbranch_scc1 label_0A65                                  // 0000000066F0: BF850028
	s_cmp_eq_i32 s74, s62                                      // 0000000066F4: BF003E4A
	s_cbranch_scc1 label_0A4A                                  // 0000000066F8: BF85000B
	s_add_u32 s62, 4, s47                                      // 0000000066FC: 803E2F84
	s_cmp_lt_i32 s74, s62                                      // 000000006700: BF043E4A
	s_cbranch_scc1 label_0A85                                  // 000000006704: BF850043
	s_cmp_eq_i32 s74, s62                                      // 000000006708: BF003E4A
	s_cbranch_scc1 label_0A6A                                  // 00000000670C: BF850026
	s_add_u32 s62, 8, s47                                      // 000000006710: 803E2F88
	s_cmp_lt_i32 s74, s62                                      // 000000006714: BF043E4A
	s_cbranch_scc1 label_0AA5                                  // 000000006718: BF85005E
	s_cmp_eq_i32 s74, s62                                      // 00000000671C: BF003E4A
	s_cbranch_scc1 label_0A8A                                  // 000000006720: BF850041
	s_branch label_0AAA                                        // 000000006724: BF820060

0000000000006728 <label_0A4A>:
	v_cndmask_b32_e64 v64, v64, v178, s[60:61]                 // 000000006728: D1000040 00F36540
	s_lshl_b32 s60, s60, 1                                     // 000000006730: 8E3C813C
	s_lshl_b32 s61, s61, 1                                     // 000000006734: 8E3D813D
	s_and_b32 s60, 0xfffeffff, s60                             // 000000006738: 863C3CFF FFFEFFFF
	s_and_b32 s61, 0xfffeffff, s61                             // 000000006740: 863D3DFF FFFEFFFF
	v_cndmask_b32_e64 v65, v65, v178, s[60:61]                 // 000000006748: D1000041 00F36541
	s_lshl_b32 s60, s60, 1                                     // 000000006750: 8E3C813C
	s_lshl_b32 s61, s61, 1                                     // 000000006754: 8E3D813D
	s_and_b32 s60, 0xfffeffff, s60                             // 000000006758: 863C3CFF FFFEFFFF
	s_and_b32 s61, 0xfffeffff, s61                             // 000000006760: 863D3DFF FFFEFFFF
	v_cndmask_b32_e64 v66, v66, v178, s[60:61]                 // 000000006768: D1000042 00F36542
	s_lshl_b32 s60, s60, 1                                     // 000000006770: 8E3C813C
	s_lshl_b32 s61, s61, 1                                     // 000000006774: 8E3D813D
	s_and_b32 s60, 0xfffeffff, s60                             // 000000006778: 863C3CFF FFFEFFFF
	s_and_b32 s61, 0xfffeffff, s61                             // 000000006780: 863D3DFF FFFEFFFF
	v_cndmask_b32_e64 v67, v67, v178, s[60:61]                 // 000000006788: D1000043 00F36543
	s_branch label_0A85                                        // 000000006790: BF820020

0000000000006794 <label_0A65>:
	v_mov_b32_e32 v64, v178                                    // 000000006794: 7E8003B2
	v_mov_b32_e32 v65, v178                                    // 000000006798: 7E8203B2
	v_mov_b32_e32 v66, v178                                    // 00000000679C: 7E8403B2
	v_mov_b32_e32 v67, v178                                    // 0000000067A0: 7E8603B2
	s_branch label_0A85                                        // 0000000067A4: BF82001B

00000000000067a8 <label_0A6A>:
	v_cndmask_b32_e64 v68, v68, v178, s[60:61]                 // 0000000067A8: D1000044 00F36544
	s_lshl_b32 s60, s60, 1                                     // 0000000067B0: 8E3C813C
	s_lshl_b32 s61, s61, 1                                     // 0000000067B4: 8E3D813D
	s_and_b32 s60, 0xfffeffff, s60                             // 0000000067B8: 863C3CFF FFFEFFFF
	s_and_b32 s61, 0xfffeffff, s61                             // 0000000067C0: 863D3DFF FFFEFFFF
	v_cndmask_b32_e64 v69, v69, v178, s[60:61]                 // 0000000067C8: D1000045 00F36545
	s_lshl_b32 s60, s60, 1                                     // 0000000067D0: 8E3C813C
	s_lshl_b32 s61, s61, 1                                     // 0000000067D4: 8E3D813D
	s_and_b32 s60, 0xfffeffff, s60                             // 0000000067D8: 863C3CFF FFFEFFFF
	s_and_b32 s61, 0xfffeffff, s61                             // 0000000067E0: 863D3DFF FFFEFFFF
	v_cndmask_b32_e64 v70, v70, v178, s[60:61]                 // 0000000067E8: D1000046 00F36546
	s_lshl_b32 s60, s60, 1                                     // 0000000067F0: 8E3C813C
	s_lshl_b32 s61, s61, 1                                     // 0000000067F4: 8E3D813D
	s_and_b32 s60, 0xfffeffff, s60                             // 0000000067F8: 863C3CFF FFFEFFFF
	s_and_b32 s61, 0xfffeffff, s61                             // 000000006800: 863D3DFF FFFEFFFF
	v_cndmask_b32_e64 v71, v71, v178, s[60:61]                 // 000000006808: D1000047 00F36547
	s_branch label_0AA5                                        // 000000006810: BF820020

0000000000006814 <label_0A85>:
	v_mov_b32_e32 v68, v178                                    // 000000006814: 7E8803B2
	v_mov_b32_e32 v69, v178                                    // 000000006818: 7E8A03B2
	v_mov_b32_e32 v70, v178                                    // 00000000681C: 7E8C03B2
	v_mov_b32_e32 v71, v178                                    // 000000006820: 7E8E03B2
	s_branch label_0AA5                                        // 000000006824: BF82001B

0000000000006828 <label_0A8A>:
	v_cndmask_b32_e64 v72, v72, v178, s[60:61]                 // 000000006828: D1000048 00F36548
	s_lshl_b32 s60, s60, 1                                     // 000000006830: 8E3C813C
	s_lshl_b32 s61, s61, 1                                     // 000000006834: 8E3D813D
	s_and_b32 s60, 0xfffeffff, s60                             // 000000006838: 863C3CFF FFFEFFFF
	s_and_b32 s61, 0xfffeffff, s61                             // 000000006840: 863D3DFF FFFEFFFF
	v_cndmask_b32_e64 v73, v73, v178, s[60:61]                 // 000000006848: D1000049 00F36549
	s_lshl_b32 s60, s60, 1                                     // 000000006850: 8E3C813C
	s_lshl_b32 s61, s61, 1                                     // 000000006854: 8E3D813D
	s_and_b32 s60, 0xfffeffff, s60                             // 000000006858: 863C3CFF FFFEFFFF
	s_and_b32 s61, 0xfffeffff, s61                             // 000000006860: 863D3DFF FFFEFFFF
	v_cndmask_b32_e64 v74, v74, v178, s[60:61]                 // 000000006868: D100004A 00F3654A
	s_lshl_b32 s60, s60, 1                                     // 000000006870: 8E3C813C
	s_lshl_b32 s61, s61, 1                                     // 000000006874: 8E3D813D
	s_and_b32 s60, 0xfffeffff, s60                             // 000000006878: 863C3CFF FFFEFFFF
	s_and_b32 s61, 0xfffeffff, s61                             // 000000006880: 863D3DFF FFFEFFFF
	v_cndmask_b32_e64 v75, v75, v178, s[60:61]                 // 000000006888: D100004B 00F3654B
	s_branch label_0AAA                                        // 000000006890: BF820005

0000000000006894 <label_0AA5>:
	v_mov_b32_e32 v72, v178                                    // 000000006894: 7E9003B2
	v_mov_b32_e32 v73, v178                                    // 000000006898: 7E9203B2
	v_mov_b32_e32 v74, v178                                    // 00000000689C: 7E9403B2
	v_mov_b32_e32 v75, v178                                    // 0000000068A0: 7E9603B2
	s_branch label_0AAA                                        // 0000000068A4: BF820000

00000000000068a8 <label_0AAA>:
	s_addk_i32 s74, 0x1                                        // 0000000068A8: B74A0001
	s_waitcnt lgkmcnt(8)                                       // 0000000068AC: BF8CC87F
	s_barrier                                                  // 0000000068B0: BF8A0000
	v_mfma_f32_16x16x16_bf16 v[76:79], v[108:109], a[72:73], 0 // 0000000068B4: D3E1004C 1202916C
	ds_read_b128 a[96:99], v18 offset:4352                     // 0000000068BC: DBFE1100 60000012
	ds_read_b128 a[100:103], v18 offset:4864                   // 0000000068C4: DBFE1300 64000012
	v_mfma_f32_16x16x16_bf16 v[76:79], v[110:111], a[74:75], v[76:79]// 0000000068CC: D3E1004C 1532956E
	v_fma_f32 v52, v52, s57, -v140                             // 0000000068D4: D1CB0034 86307334
	v_fma_f32 v53, v53, s57, -v141                             // 0000000068DC: D1CB0035 86347335
	v_fma_f32 v54, v54, s57, -v142                             // 0000000068E4: D1CB0036 86387336
	v_fma_f32 v55, v55, s57, -v143                             // 0000000068EC: D1CB0037 863C7337
	v_fma_f32 v56, v56, s57, -v140                             // 0000000068F4: D1CB0038 86307338
	v_fma_f32 v57, v57, s57, -v141                             // 0000000068FC: D1CB0039 86347339
	v_mfma_f32_16x16x16_bf16 v[76:79], v[112:113], a[76:77], v[76:79]// 000000006904: D3E1004C 15329970
	v_fma_f32 v58, v58, s57, -v142                             // 00000000690C: D1CB003A 8638733A
	v_fma_f32 v59, v59, s57, -v143                             // 000000006914: D1CB003B 863C733B
	v_fma_f32 v60, v60, s57, -v140                             // 00000000691C: D1CB003C 8630733C
	v_fma_f32 v61, v61, s57, -v141                             // 000000006924: D1CB003D 8634733D
	v_fma_f32 v62, v62, s57, -v142                             // 00000000692C: D1CB003E 8638733E
	v_fma_f32 v63, v63, s57, -v143                             // 000000006934: D1CB003F 863C733F
	v_mfma_f32_16x16x16_bf16 v[76:79], v[114:115], a[78:79], v[76:79]// 00000000693C: D3E1004C 15329D72
	v_fma_f32 v64, v64, s57, -v144                             // 000000006944: D1CB0040 86407340
	v_fma_f32 v65, v65, s57, -v145                             // 00000000694C: D1CB0041 86447341
	v_fma_f32 v66, v66, s57, -v146                             // 000000006954: D1CB0042 86487342
	v_fma_f32 v67, v67, s57, -v147                             // 00000000695C: D1CB0043 864C7343
	v_fma_f32 v68, v68, s57, -v144                             // 000000006964: D1CB0044 86407344
	v_fma_f32 v69, v69, s57, -v145                             // 00000000696C: D1CB0045 86447345
	v_mfma_f32_16x16x16_bf16 v[80:83], v[108:109], a[80:81], 0 // 000000006974: D3E10050 1202A16C
	ds_read_b128 a[104:107], v18 offset:6528                   // 00000000697C: DBFE1980 68000012
	ds_read_b128 a[108:111], v18 offset:7040                   // 000000006984: DBFE1B80 6C000012
	v_mfma_f32_16x16x16_bf16 v[80:83], v[110:111], a[82:83], v[80:83]// 00000000698C: D3E10050 1542A56E
	v_fma_f32 v70, v70, s57, -v146                             // 000000006994: D1CB0046 86487346
	v_fma_f32 v71, v71, s57, -v147                             // 00000000699C: D1CB0047 864C7347
	v_fma_f32 v72, v72, s57, -v144                             // 0000000069A4: D1CB0048 86407348
	v_fma_f32 v73, v73, s57, -v145                             // 0000000069AC: D1CB0049 86447349
	v_fma_f32 v74, v74, s57, -v146                             // 0000000069B4: D1CB004A 8648734A
	v_fma_f32 v75, v75, s57, -v147                             // 0000000069BC: D1CB004B 864C734B
	v_mfma_f32_16x16x16_bf16 v[80:83], v[112:113], a[84:85], v[80:83]// 0000000069C4: D3E10050 1542A970
	v_exp_f32_e32 v52, v52                                     // 0000000069CC: 7E684134
	v_exp_f32_e32 v53, v53                                     // 0000000069D0: 7E6A4135
	v_mfma_f32_16x16x16_bf16 v[80:83], v[114:115], a[86:87], v[80:83]// 0000000069D4: D3E10050 1542AD72
	v_exp_f32_e32 v54, v54                                     // 0000000069DC: 7E6C4136
	v_exp_f32_e32 v55, v55                                     // 0000000069E0: 7E6E4137
	v_mfma_f32_16x16x16_bf16 v[84:87], v[108:109], a[88:89], 0 // 0000000069E4: D3E10054 1202B16C
	ds_read_b32 v156, v25 offset:31232                         // 0000000069EC: D86C7A00 9C000019
	ds_read_b32 v157, v25 offset:31248                         // 0000000069F4: D86C7A10 9D000019
	v_mfma_f32_16x16x16_bf16 v[84:87], v[110:111], a[90:91], v[84:87]// 0000000069FC: D3E10054 1552B56E
	v_exp_f32_e32 v56, v56                                     // 000000006A04: 7E704138
	v_exp_f32_e32 v57, v57                                     // 000000006A08: 7E724139
	v_mfma_f32_16x16x16_bf16 v[84:87], v[112:113], a[92:93], v[84:87]// 000000006A0C: D3E10054 1552B970
	ds_read_b32 v158, v25 offset:31264                         // 000000006A14: D86C7A20 9E000019
	ds_read_b32 v159, v25 offset:31280                         // 000000006A1C: D86C7A30 9F000019
	v_mfma_f32_16x16x16_bf16 v[84:87], v[114:115], a[94:95], v[84:87]// 000000006A24: D3E10054 1552BD72
	v_exp_f32_e32 v58, v58                                     // 000000006A2C: 7E74413A
	v_exp_f32_e32 v59, v59                                     // 000000006A30: 7E76413B
	v_mfma_f32_16x16x16_bf16 v[88:91], v[116:117], a[72:73], 0 // 000000006A34: D3E10058 12029174
	v_exp_f32_e32 v60, v60                                     // 000000006A3C: 7E78413C
	v_exp_f32_e32 v61, v61                                     // 000000006A40: 7E7A413D
	v_mfma_f32_16x16x16_bf16 v[88:91], v[118:119], a[74:75], v[88:91]// 000000006A44: D3E10058 15629576
	v_exp_f32_e32 v62, v62                                     // 000000006A4C: 7E7C413E
	v_exp_f32_e32 v63, v63                                     // 000000006A50: 7E7E413F
	v_mfma_f32_16x16x16_bf16 v[88:91], v[120:121], a[76:77], v[88:91]// 000000006A54: D3E10058 15629978
	v_exp_f32_e32 v64, v64                                     // 000000006A5C: 7E804140
	v_exp_f32_e32 v65, v65                                     // 000000006A60: 7E824141
	v_mfma_f32_16x16x16_bf16 v[88:91], v[122:123], a[78:79], v[88:91]// 000000006A64: D3E10058 15629D7A
	v_exp_f32_e32 v66, v66                                     // 000000006A6C: 7E844142
	v_exp_f32_e32 v67, v67                                     // 000000006A70: 7E864143
	v_mfma_f32_16x16x16_bf16 v[92:95], v[116:117], a[80:81], 0 // 000000006A74: D3E1005C 1202A174
	v_exp_f32_e32 v68, v68                                     // 000000006A7C: 7E884144
	v_exp_f32_e32 v69, v69                                     // 000000006A80: 7E8A4145
	v_mfma_f32_16x16x16_bf16 v[92:95], v[118:119], a[82:83], v[92:95]// 000000006A84: D3E1005C 1572A576
	v_exp_f32_e32 v70, v70                                     // 000000006A8C: 7E8C4146
	v_exp_f32_e32 v71, v71                                     // 000000006A90: 7E8E4147
	v_mfma_f32_16x16x16_bf16 v[92:95], v[120:121], a[84:85], v[92:95]// 000000006A94: D3E1005C 1572A978
	v_exp_f32_e32 v72, v72                                     // 000000006A9C: 7E904148
	v_exp_f32_e32 v73, v73                                     // 000000006AA0: 7E924149
	v_mfma_f32_16x16x16_bf16 v[92:95], v[122:123], a[86:87], v[92:95]// 000000006AA4: D3E1005C 1572AD7A
	v_exp_f32_e32 v74, v74                                     // 000000006AAC: 7E94414A
	v_exp_f32_e32 v75, v75                                     // 000000006AB0: 7E96414B
	v_mfma_f32_16x16x16_bf16 v[96:99], v[116:117], a[88:89], 0 // 000000006AB4: D3E10060 1202B174
	v_perm_b32 v164, v53, v52, s64                             // 000000006ABC: D1ED00A4 01026935
	v_perm_b32 v165, v55, v54, s64                             // 000000006AC4: D1ED00A5 01026D37
	v_perm_b32 v166, v57, v56, s64                             // 000000006ACC: D1ED00A6 01027139
	v_perm_b32 v167, v59, v58, s64                             // 000000006AD4: D1ED00A7 0102753B
	v_perm_b32 v168, v61, v60, s64                             // 000000006ADC: D1ED00A8 0102793D
	v_perm_b32 v169, v63, v62, s64                             // 000000006AE4: D1ED00A9 01027D3F
	v_mfma_f32_16x16x16_bf16 v[96:99], v[118:119], a[90:91], v[96:99]// 000000006AEC: D3E10060 1582B576
	v_perm_b32 v170, v65, v64, s64                             // 000000006AF4: D1ED00AA 01028141
	v_perm_b32 v171, v67, v66, s64                             // 000000006AFC: D1ED00AB 01028543
	v_perm_b32 v172, v69, v68, s64                             // 000000006B04: D1ED00AC 01028945
	v_perm_b32 v173, v71, v70, s64                             // 000000006B0C: D1ED00AD 01028D47
	v_perm_b32 v174, v73, v72, s64                             // 000000006B14: D1ED00AE 01029149
	v_perm_b32 v175, v75, v74, s64                             // 000000006B1C: D1ED00AF 0102954B
	v_mfma_f32_16x16x16_bf16 v[96:99], v[120:121], a[92:93], v[96:99]// 000000006B24: D3E10060 1582B978
	s_add_u32 s32, s66, s32                                    // 000000006B2C: 80202042
	s_addc_u32 s33, 0, s33                                     // 000000006B30: 82212180
	v_mfma_f32_16x16x16_bf16 v[96:99], v[122:123], a[94:95], v[96:99]// 000000006B34: D3E10060 1582BD7A
	s_waitcnt lgkmcnt(0)                                       // 000000006B3C: BF8CC07F
	s_barrier                                                  // 000000006B40: BF8A0000
	v_mfma_f32_16x16x16_bf16 v[180:183], v[124:125], v[164:165], v[180:183]// 000000006B44: D3E100B4 06D3497C
	v_subrev_f32_dpp v76, v176, v76 quad_perm:[0,0,0,0] row_mask:0xf bank_mask:0xf// 000000006B4C: 069898FA FF0000B0
	v_subrev_f32_dpp v77, v176, v77 quad_perm:[1,1,1,1] row_mask:0xf bank_mask:0xf// 000000006B54: 069A9AFA FF0055B0
	v_subrev_f32_dpp v78, v176, v78 quad_perm:[2,2,2,2] row_mask:0xf bank_mask:0xf// 000000006B5C: 069C9CFA FF00AAB0
	v_subrev_f32_dpp v79, v176, v79 quad_perm:[3,3,3,3] row_mask:0xf bank_mask:0xf// 000000006B64: 069E9EFA FF00FFB0
	v_subrev_f32_dpp v80, v176, v80 quad_perm:[0,0,0,0] row_mask:0xf bank_mask:0xf// 000000006B6C: 06A0A0FA FF0000B0
	v_subrev_f32_dpp v81, v176, v81 quad_perm:[1,1,1,1] row_mask:0xf bank_mask:0xf// 000000006B74: 06A2A2FA FF0055B0
	v_mfma_f32_16x16x16_bf16 v[184:187], v[126:127], v[164:165], v[184:187]// 000000006B7C: D3E100B8 06E3497E
	v_subrev_f32_dpp v82, v176, v82 quad_perm:[2,2,2,2] row_mask:0xf bank_mask:0xf// 000000006B84: 06A4A4FA FF00AAB0
	v_subrev_f32_dpp v83, v176, v83 quad_perm:[3,3,3,3] row_mask:0xf bank_mask:0xf// 000000006B8C: 06A6A6FA FF00FFB0
	v_subrev_f32_dpp v84, v176, v84 quad_perm:[0,0,0,0] row_mask:0xf bank_mask:0xf// 000000006B94: 06A8A8FA FF0000B0
	v_subrev_f32_dpp v85, v176, v85 quad_perm:[1,1,1,1] row_mask:0xf bank_mask:0xf// 000000006B9C: 06AAAAFA FF0055B0
	v_subrev_f32_dpp v86, v176, v86 quad_perm:[2,2,2,2] row_mask:0xf bank_mask:0xf// 000000006BA4: 06ACACFA FF00AAB0
	v_subrev_f32_dpp v87, v176, v87 quad_perm:[3,3,3,3] row_mask:0xf bank_mask:0xf// 000000006BAC: 06AEAEFA FF00FFB0
	v_mfma_f32_16x16x16_bf16 v[188:191], v[128:129], v[164:165], v[188:191]// 000000006BB4: D3E100BC 06F34980
	v_mul_f32_e32 v76, v52, v76                                // 000000006BBC: 0A989934
	v_mul_f32_e32 v77, v53, v77                                // 000000006BC0: 0A9A9B35
	v_mul_f32_e32 v78, v54, v78                                // 000000006BC4: 0A9C9D36
	v_mul_f32_e32 v79, v55, v79                                // 000000006BC8: 0A9E9F37
	v_mul_f32_e32 v80, v56, v80                                // 000000006BCC: 0AA0A138
	v_mul_f32_e32 v81, v57, v81                                // 000000006BD0: 0AA2A339
	v_mfma_f32_16x16x16_bf16 v[192:195], v[130:131], v[164:165], v[192:195]// 000000006BD4: D3E100C0 07034982
	v_mul_f32_e32 v82, v58, v82                                // 000000006BDC: 0AA4A53A
	v_mul_f32_e32 v83, v59, v83                                // 000000006BE0: 0AA6A73B
	v_mul_f32_e32 v84, v60, v84                                // 000000006BE4: 0AA8A93C
	v_mul_f32_e32 v85, v61, v85                                // 000000006BE8: 0AAAAB3D
	v_mul_f32_e32 v86, v62, v86                                // 000000006BEC: 0AACAD3E
	v_mul_f32_e32 v87, v63, v87                                // 000000006BF0: 0AAEAF3F
	v_mfma_f32_16x16x16_bf16 v[196:199], v[124:125], v[166:167], v[196:199]// 000000006BF4: D3E100C4 07134D7C
	v_perm_b32 v76, v77, v76, s64                              // 000000006BFC: D1ED004C 0102994D
	v_perm_b32 v77, v79, v78, s64                              // 000000006C04: D1ED004D 01029D4F
	v_perm_b32 v78, v81, v80, s64                              // 000000006C0C: D1ED004E 0102A151
	v_perm_b32 v79, v83, v82, s64                              // 000000006C14: D1ED004F 0102A553
	v_perm_b32 v80, v85, v84, s64                              // 000000006C1C: D1ED0050 0102A955
	v_perm_b32 v81, v87, v86, s64                              // 000000006C24: D1ED0051 0102AD57
	v_mfma_f32_16x16x16_bf16 v[200:203], v[126:127], v[166:167], v[200:203]// 000000006C2C: D3E100C8 07234D7E
	v_mov_b32_dpp v22, v76 quad_perm:[1,0,3,2] row_mask:0xf bank_mask:0xf// 000000006C34: 7E2C02FA FF00B14C
	v_perm_b32 v52, v22, v76, v21                              // 000000006C3C: D1ED0034 04569916
	v_mov_b32_dpp v22, v77 quad_perm:[1,0,3,2] row_mask:0xf bank_mask:0xf// 000000006C44: 7E2C02FA FF00B14D
	v_perm_b32 v53, v22, v77, v21                              // 000000006C4C: D1ED0035 04569B16
	v_mov_b32_dpp v22, v78 quad_perm:[1,0,3,2] row_mask:0xf bank_mask:0xf// 000000006C54: 7E2C02FA FF00B14E
	v_perm_b32 v54, v22, v78, v21                              // 000000006C5C: D1ED0036 04569D16
	v_mfma_f32_16x16x16_bf16 v[204:207], v[128:129], v[166:167], v[204:207]// 000000006C64: D3E100CC 07334D80
	v_mov_b32_dpp v22, v79 quad_perm:[1,0,3,2] row_mask:0xf bank_mask:0xf// 000000006C6C: 7E2C02FA FF00B14F
	v_perm_b32 v55, v22, v79, v21                              // 000000006C74: D1ED0037 04569F16
	v_mov_b32_dpp v22, v80 quad_perm:[1,0,3,2] row_mask:0xf bank_mask:0xf// 000000006C7C: 7E2C02FA FF00B150
	v_perm_b32 v56, v22, v80, v21                              // 000000006C84: D1ED0038 0456A116
	v_mov_b32_dpp v22, v81 quad_perm:[1,0,3,2] row_mask:0xf bank_mask:0xf// 000000006C8C: 7E2C02FA FF00B151
	v_perm_b32 v57, v22, v81, v21                              // 000000006C94: D1ED0039 0456A316
	v_mfma_f32_16x16x16_bf16 v[208:211], v[130:131], v[166:167], v[208:211]// 000000006C9C: D3E100D0 07434D82
	ds_write_b32 v24, v52 offset:17408                         // 000000006CA4: D81A4400 00003418
	ds_write_b32 v24, v53 offset:17952                         // 000000006CAC: D81A4620 00003518
	v_mfma_f32_16x16x16_bf16 v[212:215], v[124:125], v[168:169], v[212:215]// 000000006CB4: D3E100D4 0753517C
	v_subrev_f32_dpp v88, v177, v88 quad_perm:[0,0,0,0] row_mask:0xf bank_mask:0xf// 000000006CBC: 06B0B0FA FF0000B1
	v_subrev_f32_dpp v89, v177, v89 quad_perm:[1,1,1,1] row_mask:0xf bank_mask:0xf// 000000006CC4: 06B2B2FA FF0055B1
	v_subrev_f32_dpp v90, v177, v90 quad_perm:[2,2,2,2] row_mask:0xf bank_mask:0xf// 000000006CCC: 06B4B4FA FF00AAB1
	v_subrev_f32_dpp v91, v177, v91 quad_perm:[3,3,3,3] row_mask:0xf bank_mask:0xf// 000000006CD4: 06B6B6FA FF00FFB1
	v_subrev_f32_dpp v92, v177, v92 quad_perm:[0,0,0,0] row_mask:0xf bank_mask:0xf// 000000006CDC: 06B8B8FA FF0000B1
	v_subrev_f32_dpp v93, v177, v93 quad_perm:[1,1,1,1] row_mask:0xf bank_mask:0xf// 000000006CE4: 06BABAFA FF0055B1
	v_mfma_f32_16x16x16_bf16 v[216:219], v[126:127], v[168:169], v[216:219]// 000000006CEC: D3E100D8 0763517E
	ds_write_b32 v24, v54 offset:19712                         // 000000006CF4: D81A4D00 00003618
	ds_write_b32 v24, v55 offset:20256                         // 000000006CFC: D81A4F20 00003718
	v_mfma_f32_16x16x16_bf16 v[220:223], v[128:129], v[168:169], v[220:223]// 000000006D04: D3E100DC 07735180
	v_subrev_f32_dpp v94, v177, v94 quad_perm:[2,2,2,2] row_mask:0xf bank_mask:0xf// 000000006D0C: 06BCBCFA FF00AAB1
	v_subrev_f32_dpp v95, v177, v95 quad_perm:[3,3,3,3] row_mask:0xf bank_mask:0xf// 000000006D14: 06BEBEFA FF00FFB1
	v_subrev_f32_dpp v96, v177, v96 quad_perm:[0,0,0,0] row_mask:0xf bank_mask:0xf// 000000006D1C: 06C0C0FA FF0000B1
	v_subrev_f32_dpp v97, v177, v97 quad_perm:[1,1,1,1] row_mask:0xf bank_mask:0xf// 000000006D24: 06C2C2FA FF0055B1
	v_subrev_f32_dpp v98, v177, v98 quad_perm:[2,2,2,2] row_mask:0xf bank_mask:0xf// 000000006D2C: 06C4C4FA FF00AAB1
	v_subrev_f32_dpp v99, v177, v99 quad_perm:[3,3,3,3] row_mask:0xf bank_mask:0xf// 000000006D34: 06C6C6FA FF00FFB1
	v_mfma_f32_16x16x16_bf16 v[224:227], v[130:131], v[168:169], v[224:227]// 000000006D3C: D3E100E0 07835182
	ds_write_b32 v24, v56 offset:22016                         // 000000006D44: D81A5600 00003818
	ds_write_b32 v24, v57 offset:22560                         // 000000006D4C: D81A5820 00003918
	v_mfma_f32_16x16x16_bf16 v[180:183], v[132:133], v[170:171], v[180:183]// 000000006D54: D3E100B4 06D35584
	v_mul_f32_e32 v88, v64, v88                                // 000000006D5C: 0AB0B140
	v_mul_f32_e32 v89, v65, v89                                // 000000006D60: 0AB2B341
	v_mul_f32_e32 v90, v66, v90                                // 000000006D64: 0AB4B542
	v_mul_f32_e32 v91, v67, v91                                // 000000006D68: 0AB6B743
	v_mul_f32_e32 v92, v68, v92                                // 000000006D6C: 0AB8B944
	v_mul_f32_e32 v93, v69, v93                                // 000000006D70: 0ABABB45
	v_mfma_f32_16x16x16_bf16 v[184:187], v[134:135], v[170:171], v[184:187]// 000000006D74: D3E100B8 06E35586
	v_mul_f32_e32 v94, v70, v94                                // 000000006D7C: 0ABCBD46
	v_mul_f32_e32 v95, v71, v95                                // 000000006D80: 0ABEBF47
	v_mul_f32_e32 v96, v72, v96                                // 000000006D84: 0AC0C148
	v_mul_f32_e32 v97, v73, v97                                // 000000006D88: 0AC2C349
	v_mul_f32_e32 v98, v74, v98                                // 000000006D8C: 0AC4C54A
	v_mul_f32_e32 v99, v75, v99                                // 000000006D90: 0AC6C74B
	v_mfma_f32_16x16x16_bf16 v[188:191], v[136:137], v[170:171], v[188:191]// 000000006D94: D3E100BC 06F35588
	v_perm_b32 v82, v89, v88, s64                              // 000000006D9C: D1ED0052 0102B159
	v_perm_b32 v83, v91, v90, s64                              // 000000006DA4: D1ED0053 0102B55B
	v_perm_b32 v84, v93, v92, s64                              // 000000006DAC: D1ED0054 0102B95D
	v_perm_b32 v85, v95, v94, s64                              // 000000006DB4: D1ED0055 0102BD5F
	v_perm_b32 v86, v97, v96, s64                              // 000000006DBC: D1ED0056 0102C161
	v_perm_b32 v87, v99, v98, s64                              // 000000006DC4: D1ED0057 0102C563
	v_mfma_f32_16x16x16_bf16 v[192:195], v[138:139], v[170:171], v[192:195]// 000000006DCC: D3E100C0 0703558A
	v_mov_b32_dpp v22, v82 quad_perm:[1,0,3,2] row_mask:0xf bank_mask:0xf// 000000006DD4: 7E2C02FA FF00B152
	v_perm_b32 v58, v22, v82, v21                              // 000000006DDC: D1ED003A 0456A516
	v_mov_b32_dpp v22, v83 quad_perm:[1,0,3,2] row_mask:0xf bank_mask:0xf// 000000006DE4: 7E2C02FA FF00B153
	v_perm_b32 v59, v22, v83, v21                              // 000000006DEC: D1ED003B 0456A716
	v_mov_b32_dpp v22, v84 quad_perm:[1,0,3,2] row_mask:0xf bank_mask:0xf// 000000006DF4: 7E2C02FA FF00B154
	v_perm_b32 v60, v22, v84, v21                              // 000000006DFC: D1ED003C 0456A916
	v_mfma_f32_16x16x16_bf16 v[196:199], v[132:133], v[172:173], v[196:199]// 000000006E04: D3E100C4 07135984
	v_mov_b32_dpp v22, v85 quad_perm:[1,0,3,2] row_mask:0xf bank_mask:0xf// 000000006E0C: 7E2C02FA FF00B155
	v_perm_b32 v61, v22, v85, v21                              // 000000006E14: D1ED003D 0456AB16
	v_mov_b32_dpp v22, v86 quad_perm:[1,0,3,2] row_mask:0xf bank_mask:0xf// 000000006E1C: 7E2C02FA FF00B156
	v_perm_b32 v62, v22, v86, v21                              // 000000006E24: D1ED003E 0456AD16
	v_mov_b32_dpp v22, v87 quad_perm:[1,0,3,2] row_mask:0xf bank_mask:0xf// 000000006E2C: 7E2C02FA FF00B157
	v_perm_b32 v63, v22, v87, v21                              // 000000006E34: D1ED003F 0456AF16
	v_mfma_f32_16x16x16_bf16 v[200:203], v[134:135], v[172:173], v[200:203]// 000000006E3C: D3E100C8 07235986
	ds_write_b32 v24, v58 offset:24320                         // 000000006E44: D81A5F00 00003A18
	ds_write_b32 v24, v59 offset:24864                         // 000000006E4C: D81A6120 00003B18
	v_mfma_f32_16x16x16_bf16 v[204:207], v[136:137], v[172:173], v[204:207]// 000000006E54: D3E100CC 07335988
	v_mfma_f32_16x16x16_bf16 v[208:211], v[138:139], v[172:173], v[208:211]// 000000006E5C: D3E100D0 0743598A
	ds_write_b32 v24, v60 offset:26624                         // 000000006E64: D81A6800 00003C18
	ds_write_b32 v24, v61 offset:27168                         // 000000006E6C: D81A6A20 00003D18
	ds_write_b32 v24, v62 offset:28928                         // 000000006E74: D81A7100 00003E18
	ds_write_b32 v24, v63 offset:29472                         // 000000006E7C: D81A7320 00003F18
	v_mfma_f32_16x16x16_bf16 v[212:215], v[132:133], v[174:175], v[212:215]// 000000006E84: D3E100D4 07535D84
	v_mfma_f32_16x16x16_bf16 v[216:219], v[134:135], v[174:175], v[216:219]// 000000006E8C: D3E100D8 07635D86
	ds_write_b32 v19, v100 offset:4352                         // 000000006E94: D81A1100 00006413
	ds_write_b32 v19, v101 offset:5408                         // 000000006E9C: D81A1520 00006513
	v_mfma_f32_16x16x16_bf16 v[220:223], v[136:137], v[174:175], v[220:223]// 000000006EA4: D3E100DC 07735D88
	s_nop 0                                                    // 000000006EAC: BF800000
	s_nop 0                                                    // 000000006EB0: BF800000
	s_nop 0                                                    // 000000006EB4: BF800000
	v_mfma_f32_16x16x16_bf16 v[224:227], v[138:139], v[174:175], v[224:227]// 000000006EB8: D3E100E0 07835D8A
	ds_write_b32 v19, v102 offset:6528                         // 000000006EC0: D81A1980 00006613
	ds_write_b32 v19, v103 offset:7584                         // 000000006EC8: D81A1DA0 00006713
	s_barrier                                                  // 000000006ED0: BF8A0000
	v_mfma_f32_16x16x16_bf16 a[112:115], a[96:97], v[76:77], a[112:115]// 000000006ED4: D3E18070 0DC29960
	global_atomic_pk_add_bf16 v6, v156, s[32:33]               // 000000006EDC: DD488000 00209C06
	v_mfma_f32_16x16x16_bf16 a[116:119], a[98:99], v[76:77], a[116:119]// 000000006EE4: D3E18074 0DD29962
	ds_read_b32 v140, v27 offset:35584                         // 000000006EEC: D86C8B00 8C00001B
	ds_read_b32 v144, v27 offset:35648                         // 000000006EF4: D86C8B40 9000001B
	ds_read_b32 v176, v27 offset:35840                         // 000000006EFC: D86C8C00 B000001B
	ds_read_b32 v177, v27 offset:35904                         // 000000006F04: D86C8C40 B100001B
	v_mfma_f32_16x16x16_bf16 a[120:123], a[100:101], v[76:77], a[120:123]// 000000006F0C: D3E18078 0DE29964
	s_waitcnt lgkmcnt(8)                                       // 000000006F14: BF8CC87F
	s_barrier                                                  // 000000006F18: BF8A0000
	v_mfma_f32_16x16x16_bf16 a[124:127], a[102:103], v[76:77], a[124:127]// 000000006F1C: D3E1807C 0DF29966
	ds_read_b128 v[52:55], v23 offset:17408                    // 000000006F24: D9FE4400 34000017
	v_mfma_f32_16x16x16_bf16 a[128:131], a[96:97], v[78:79], a[128:131]// 000000006F2C: D3E18080 0E029D60
	v_mfma_f32_16x16x16_bf16 a[132:135], a[98:99], v[78:79], a[132:135]// 000000006F34: D3E18084 0E129D62
	ds_read_b128 v[56:59], v23 offset:18560                    // 000000006F3C: D9FE4880 38000017
	v_mfma_f32_16x16x16_bf16 a[136:139], a[100:101], v[78:79], a[136:139]// 000000006F44: D3E18088 0E229D64
	global_atomic_pk_add_bf16 v8, v157, s[32:33]               // 000000006F4C: DD488000 00209D08
	v_mfma_f32_16x16x16_bf16 a[140:143], a[102:103], v[78:79], a[140:143]// 000000006F54: D3E1808C 0E329D66
	ds_read_b128 v[60:63], v23 offset:19712                    // 000000006F5C: D9FE4D00 3C000017
	v_mfma_f32_16x16x16_bf16 a[144:147], a[96:97], v[80:81], a[144:147]// 000000006F64: D3E18090 0E42A160
	v_mfma_f32_16x16x16_bf16 a[148:151], a[98:99], v[80:81], a[148:151]// 000000006F6C: D3E18094 0E52A162
	ds_read_b128 v[64:67], v23 offset:20864                    // 000000006F74: D9FE5180 40000017
	v_mfma_f32_16x16x16_bf16 a[152:155], a[100:101], v[80:81], a[152:155]// 000000006F7C: D3E18098 0E62A164
	v_mfma_f32_16x16x16_bf16 a[156:159], a[102:103], v[80:81], a[156:159]// 000000006F84: D3E1809C 0E72A166
	ds_read_b128 v[68:71], v23 offset:22016                    // 000000006F8C: D9FE5600 44000017
	v_mfma_f32_16x16x16_bf16 a[112:115], a[104:105], v[82:83], a[112:115]// 000000006F94: D3E18070 0DC2A568
	global_atomic_pk_add_bf16 v10, v158, s[32:33]              // 000000006F9C: DD488000 00209E0A
	v_mfma_f32_16x16x16_bf16 a[116:119], a[106:107], v[82:83], a[116:119]// 000000006FA4: D3E18074 0DD2A56A
	ds_read_b128 v[72:75], v23 offset:23168                    // 000000006FAC: D9FE5A80 48000017
	v_mfma_f32_16x16x16_bf16 a[120:123], a[108:109], v[82:83], a[120:123]// 000000006FB4: D3E18078 0DE2A56C
	v_mfma_f32_16x16x16_bf16 a[124:127], a[110:111], v[82:83], a[124:127]// 000000006FBC: D3E1807C 0DF2A56E
	ds_write_b32 v19, v104 offset:13056                        // 000000006FC4: D81A3300 00006813
	v_mfma_f32_16x16x16_bf16 a[128:131], a[104:105], v[84:85], a[128:131]// 000000006FCC: D3E18080 0E02A968
	v_mfma_f32_16x16x16_bf16 a[132:135], a[106:107], v[84:85], a[132:135]// 000000006FD4: D3E18084 0E12A96A
	ds_write_b32 v19, v105 offset:14112                        // 000000006FDC: D81A3720 00006913
	v_mfma_f32_16x16x16_bf16 a[136:139], a[108:109], v[84:85], a[136:139]// 000000006FE4: D3E18088 0E22A96C
	global_atomic_pk_add_bf16 v12, v159, s[32:33]              // 000000006FEC: DD488000 00209F0C
	v_mfma_f32_16x16x16_bf16 a[140:143], a[110:111], v[84:85], a[140:143]// 000000006FF4: D3E1808C 0E32A96E
	ds_write_b32 v19, v106 offset:15232                        // 000000006FFC: D81A3B80 00006A13
	v_mfma_f32_16x16x16_bf16 a[144:147], a[104:105], v[86:87], a[144:147]// 000000007004: D3E18090 0E42AD68
	v_mfma_f32_16x16x16_bf16 a[148:151], a[106:107], v[86:87], a[148:151]// 00000000700C: D3E18094 0E52AD6A
	ds_write_b32 v19, v107 offset:16288                        // 000000007014: D81A3FA0 00006B13
	v_mfma_f32_16x16x16_bf16 a[152:155], a[108:109], v[86:87], a[152:155]// 00000000701C: D3E18098 0E62AD6C
	v_mfma_f32_16x16x16_bf16 a[156:159], a[110:111], v[86:87], a[156:159]// 000000007024: D3E1809C 0E72AD6E
	s_waitcnt vmcnt(4) lgkmcnt(4)                              // 00000000702C: BF8C0474
	s_barrier                                                  // 000000007030: BF8A0000
	v_mfma_f32_16x16x16_bf16 v[148:151], a[24:25], v[52:53], 0 // 000000007034: D3E10094 0A026918
	v_mul_f32_e32 v140, s49, v140                              // 00000000703C: 0B191831
	v_mul_f32_e32 v144, s49, v144                              // 000000007040: 0B212031
	s_nop 0                                                    // 000000007044: BF800000
	v_mfma_f32_16x16x16_bf16 v[148:151], a[28:29], v[54:55], v[148:151]// 000000007048: D3E10094 0E526D1C
	ds_read_b128 a[96:99], v16                                 // 000000007050: DBFE0000 60000010
	buffer_load_dword v36, v1, s[8:11], 0 idxen                // 000000007058: E0502000 80022401
	v_mfma_f32_16x16x16_bf16 v[148:151], a[32:33], v[56:57], v[148:151]// 000000007060: D3E10094 0E527120
	v_mfma_f32_16x16x16_bf16 v[148:151], a[36:37], v[58:59], v[148:151]// 000000007068: D3E10094 0E527524
	ds_read_b128 a[100:103], v16 offset:512                    // 000000007070: DBFE0200 64000010
	buffer_load_dword v37, v2, s[8:11], 0 idxen                // 000000007078: E0502000 80022502
	v_mfma_f32_16x16x16_bf16 v[148:151], a[40:41], v[60:61], v[148:151]// 000000007080: D3E10094 0E527928
	v_perm_b32 v100, v41, v40, s63                             // 000000007088: D1ED0064 00FE5129
	v_perm_b32 v101, v41, v40, s64                             // 000000007090: D1ED0065 01025129
	v_mfma_f32_16x16x16_bf16 v[148:151], a[44:45], v[62:63], v[148:151]// 000000007098: D3E10094 0E527D2C
	ds_read_b128 a[104:107], v16 offset:2176                   // 0000000070A0: DBFE0880 68000010
	buffer_load_dword v38, v3, s[8:11], 0 idxen                // 0000000070A8: E0502000 80022603
	v_mfma_f32_16x16x16_bf16 v[148:151], a[48:49], v[64:65], v[148:151]// 0000000070B0: D3E10094 0E528130
	v_perm_b32 v102, v43, v42, s63                             // 0000000070B8: D1ED0066 00FE552B
	v_perm_b32 v103, v43, v42, s64                             // 0000000070C0: D1ED0067 0102552B
	v_mfma_f32_16x16x16_bf16 v[148:151], a[52:53], v[66:67], v[148:151]// 0000000070C8: D3E10094 0E528534
	ds_read_b128 a[108:111], v16 offset:2688                   // 0000000070D0: DBFE0A80 6C000010
	buffer_load_dword v39, v4, s[8:11], 0 idxen                // 0000000070D8: E0502000 80022704
	v_mfma_f32_16x16x16_bf16 v[148:151], a[56:57], v[68:69], v[148:151]// 0000000070E0: D3E10094 0E528938
	v_perm_b32 v104, v49, v48, s63                             // 0000000070E8: D1ED0068 00FE6131
	v_perm_b32 v105, v49, v48, s64                             // 0000000070F0: D1ED0069 01026131
	v_mfma_f32_16x16x16_bf16 v[148:151], a[60:61], v[70:71], v[148:151]// 0000000070F8: D3E10094 0E528D3C
	ds_read_b128 v[108:111], v16 offset:8704                   // 000000007100: D9FE2200 6C000010
	buffer_load_dword v44, v1, s[20:23], 0 idxen               // 000000007108: E0502000 80052C01
	v_mfma_f32_16x16x16_bf16 v[148:151], a[64:65], v[72:73], v[148:151]// 000000007110: D3E10094 0E529140
	v_perm_b32 v106, v51, v50, s63                             // 000000007118: D1ED006A 00FE6533
	v_perm_b32 v107, v51, v50, s64                             // 000000007120: D1ED006B 01026533
	v_mfma_f32_16x16x16_bf16 v[148:151], a[68:69], v[74:75], v[148:151]// 000000007128: D3E10094 0E529544
	ds_read_b128 v[112:115], v16 offset:9216                   // 000000007130: D9FE2400 70000010
	buffer_load_dword v45, v2, s[20:23], 0 idxen               // 000000007138: E0502000 80052D02
	v_mfma_f32_16x16x16_bf16 v[152:155], a[26:27], v[52:53], 0 // 000000007140: D3E10098 0A02691A
	v_mov_b32_dpp v143, v140 quad_perm:[3,3,3,3] row_mask:0xf bank_mask:0xf// 000000007148: 7F1E02FA FF00FF8C
	v_mov_b32_dpp v142, v140 quad_perm:[2,2,2,2] row_mask:0xf bank_mask:0xf// 000000007150: 7F1C02FA FF00AA8C
	v_mov_b32_dpp v141, v140 quad_perm:[1,1,1,1] row_mask:0xf bank_mask:0xf// 000000007158: 7F1A02FA FF00558C
	v_mov_b32_dpp v140, v140 quad_perm:[0,0,0,0] row_mask:0xf bank_mask:0xf// 000000007160: 7F1802FA FF00008C
	v_mfma_f32_16x16x16_bf16 v[152:155], a[30:31], v[54:55], v[152:155]// 000000007168: D3E10098 0E626D1E
	ds_read_b128 v[116:119], v16 offset:10880                  // 000000007170: D9FE2A80 74000010
	buffer_load_dword v46, v3, s[20:23], 0 idxen               // 000000007178: E0502000 80052E03
	v_mfma_f32_16x16x16_bf16 v[152:155], a[34:35], v[56:57], v[152:155]// 000000007180: D3E10098 0E627122
	v_mov_b32_dpp v147, v144 quad_perm:[3,3,3,3] row_mask:0xf bank_mask:0xf// 000000007188: 7F2602FA FF00FF90
	v_mov_b32_dpp v146, v144 quad_perm:[2,2,2,2] row_mask:0xf bank_mask:0xf// 000000007190: 7F2402FA FF00AA90
	v_mov_b32_dpp v145, v144 quad_perm:[1,1,1,1] row_mask:0xf bank_mask:0xf// 000000007198: 7F2202FA FF005590
	v_mov_b32_dpp v144, v144 quad_perm:[0,0,0,0] row_mask:0xf bank_mask:0xf// 0000000071A0: 7F2002FA FF000090
	s_add_u32 s60, 0x80, s59                                   // 0000000071A8: 803C3BFF 00000080
	v_mfma_f32_16x16x16_bf16 v[152:155], a[38:39], v[58:59], v[152:155]// 0000000071B0: D3E10098 0E627526
	ds_read_b128 v[120:123], v16 offset:11392                  // 0000000071B8: D9FE2C80 78000010
	buffer_load_dword v47, v4, s[20:23], 0 idxen               // 0000000071C0: E0502000 80052F04
	v_mfma_f32_16x16x16_bf16 v[152:155], a[42:43], v[60:61], v[152:155]// 0000000071C8: D3E10098 0E62792A
	s_cmp_lt_u32 s60, s58                                      // 0000000071D0: BF0A3A3C
	s_cselect_b32 s68, s68, 0                                  // 0000000071D4: 85448044
	s_cselect_b32 s69, s69, 0                                  // 0000000071D8: 85458045
	v_mfma_f32_16x16x16_bf16 v[152:155], a[46:47], v[62:63], v[152:155]// 0000000071DC: D3E10098 0E627D2E
	buffer_load_dword v15, s[24:27], 0 idxen lds               // 0000000071E4: E0512000 8006000F
	v_mfma_f32_16x16x16_bf16 v[152:155], a[50:51], v[64:65], v[152:155]// 0000000071EC: D3E10098 0E628132
	s_add_u32 s8, s68, s8                                      // 0000000071F4: 80080844
	s_addc_u32 s9, 0, s9                                       // 0000000071F8: 82090980
	v_mfma_f32_16x16x16_bf16 v[152:155], a[54:55], v[66:67], v[152:155]// 0000000071FC: D3E10098 0E628536
	s_add_u32 s20, s68, s20                                    // 000000007204: 80141444
	s_addc_u32 s21, 0, s21                                     // 000000007208: 82151580
	v_mfma_f32_16x16x16_bf16 v[152:155], a[58:59], v[68:69], v[152:155]// 00000000720C: D3E10098 0E62893A
	s_mov_b32 m0, s81                                          // 000000007214: BEFC0051
	v_add_u32_e32 v15, s69, v15                                // 000000007218: 681E1E45
	v_mfma_f32_16x16x16_bf16 v[152:155], a[62:63], v[70:71], v[152:155]// 00000000721C: D3E10098 0E628D3E
	s_cmp_ge_u32 s59, s73                                      // 000000007224: BF09493B
	s_cselect_b32 s66, s67, s66                                // 000000007228: 85424243
	v_mfma_f32_16x16x16_bf16 v[152:155], a[66:67], v[72:73], v[152:155]// 00000000722C: D3E10098 0E629142
	s_addk_i32 s59, 0x20                                       // 000000007234: B73B0020
	s_nop 0                                                    // 000000007238: BF800000
	s_cmp_lt_i32 s59, s58                                      // 00000000723C: BF043A3B
	v_mfma_f32_16x16x16_bf16 v[152:155], a[70:71], v[74:75], v[152:155]// 000000007240: D3E10098 0E629546
	s_cbranch_scc0 label_0D14                                  // 000000007248: BF840001
	s_branch label_05B5                                        // 00000000724C: BF82F8A1

0000000000007250 <label_0D14>:
	s_nop 0                                                    // 000000007250: BF800000
	s_nop 0                                                    // 000000007254: BF800000
	s_branch label_1476                                        // 000000007258: BF82075F

000000000000725c <label_0D17>:
	s_waitcnt lgkmcnt(4)                                       // 00000000725C: BF8CC47F
	s_barrier                                                  // 000000007260: BF8A0000
	v_mfma_f32_16x16x16_bf16 v[52:55], a[96:97], a[0:1], 0     // 000000007264: D3E10034 1A020160
	v_mul_f32_e32 v148, s48, v148                              // 00000000726C: 0B292830
	v_mul_f32_e32 v149, s48, v149                              // 000000007270: 0B2B2A30
	v_mfma_f32_16x16x16_bf16 v[52:55], a[98:99], a[2:3], v[52:55]// 000000007274: D3E10034 1CD20562
	ds_write_b32 v17, v48 offset:8704                          // 00000000727C: D81A2200 00003011
	ds_write_b32 v17, v49 offset:9760                          // 000000007284: D81A2620 00003111
	v_mfma_f32_16x16x16_bf16 v[52:55], a[100:101], a[4:5], v[52:55]// 00000000728C: D3E10034 1CD20964
	v_mul_f32_e32 v150, s48, v150                              // 000000007294: 0B2D2C30
	v_mul_f32_e32 v151, s48, v151                              // 000000007298: 0B2F2E30
	v_mfma_f32_16x16x16_bf16 v[52:55], a[102:103], a[6:7], v[52:55]// 00000000729C: D3E10034 1CD20D66
	ds_write_b32 v17, v50 offset:10880                         // 0000000072A4: D81A2A80 00003211
	ds_write_b32 v17, v51 offset:11936                         // 0000000072AC: D81A2EA0 00003311
	v_mfma_f32_16x16x16_bf16 v[56:59], a[96:97], a[8:9], 0     // 0000000072B4: D3E10038 1A021160
	v_mul_f32_e32 v152, s48, v152                              // 0000000072BC: 0B313030
	v_mul_f32_e32 v153, s48, v153                              // 0000000072C0: 0B333230
	v_mfma_f32_16x16x16_bf16 v[56:59], a[98:99], a[10:11], v[56:59]// 0000000072C4: D3E10038 1CE21562
	v_mul_f32_e32 v154, s48, v154                              // 0000000072CC: 0B353430
	v_mul_f32_e32 v155, s48, v155                              // 0000000072D0: 0B373630
	v_mfma_f32_16x16x16_bf16 v[56:59], a[100:101], a[12:13], v[56:59]// 0000000072D4: D3E10038 1CE21964
	v_perm_b32 v148, v149, v148, s64                           // 0000000072DC: D1ED0094 01032995
	v_perm_b32 v149, v151, v150, s64                           // 0000000072E4: D1ED0095 01032D97
	v_mfma_f32_16x16x16_bf16 v[56:59], a[102:103], a[14:15], v[56:59]// 0000000072EC: D3E10038 1CE21D66
	v_perm_b32 v150, v153, v152, s64                           // 0000000072F4: D1ED0096 01033199
	v_perm_b32 v151, v155, v154, s64                           // 0000000072FC: D1ED0097 0103359B
	v_mfma_f32_16x16x16_bf16 v[60:63], a[96:97], a[16:17], 0   // 000000007304: D3E1003C 1A022160
	v_mfma_f32_16x16x16_bf16 v[60:63], a[98:99], a[18:19], v[60:63]// 00000000730C: D3E1003C 1CF22562
	ds_write_b64 v26, v[148:149] offset:31232                  // 000000007314: D89A7A00 0000941A
	v_mfma_f32_16x16x16_bf16 v[60:63], a[100:101], a[20:21], v[60:63]// 00000000731C: D3E1003C 1CF22964
	v_mfma_f32_16x16x16_bf16 v[60:63], a[102:103], a[22:23], v[60:63]// 000000007324: D3E1003C 1CF22D66
	ds_write_b64 v26, v[150:151] offset:31776                  // 00000000732C: D89A7C20 0000961A
	v_mfma_f32_16x16x16_bf16 v[64:67], a[104:105], a[0:1], 0   // 000000007334: D3E10040 1A020168
	v_mfma_f32_16x16x16_bf16 v[64:67], a[106:107], a[2:3], v[64:67]// 00000000733C: D3E10040 1D02056A
	ds_read_b128 v[124:127], v18 offset:13056                  // 000000007344: D9FE3300 7C000012
	ds_write_b32 v17, v40                                      // 00000000734C: D81A0000 00002811
	v_mfma_f32_16x16x16_bf16 v[64:67], a[108:109], a[4:5], v[64:67]// 000000007354: D3E10040 1D02096C
	v_mfma_f32_16x16x16_bf16 v[64:67], a[110:111], a[6:7], v[64:67]// 00000000735C: D3E10040 1D020D6E
	v_mfma_f32_16x16x16_bf16 v[68:71], a[104:105], a[8:9], 0   // 000000007364: D3E10044 1A021168
	ds_read_b128 v[128:131], v18 offset:13568                  // 00000000736C: D9FE3500 80000012
	ds_write_b32 v17, v41 offset:1056                          // 000000007374: D81A0420 00002911
	v_mfma_f32_16x16x16_bf16 v[68:71], a[106:107], a[10:11], v[68:71]// 00000000737C: D3E10044 1D12156A
	v_mfma_f32_16x16x16_bf16 v[68:71], a[108:109], a[12:13], v[68:71]// 000000007384: D3E10044 1D12196C
	v_mfma_f32_16x16x16_bf16 v[68:71], a[110:111], a[14:15], v[68:71]// 00000000738C: D3E10044 1D121D6E
	ds_read_b128 v[132:135], v18 offset:15232                  // 000000007394: D9FE3B80 84000012
	ds_write_b32 v17, v42 offset:2176                          // 00000000739C: D81A0880 00002A11
	v_mfma_f32_16x16x16_bf16 v[72:75], a[104:105], a[16:17], 0 // 0000000073A4: D3E10048 1A022168
	v_mfma_f32_16x16x16_bf16 v[72:75], a[106:107], a[18:19], v[72:75]// 0000000073AC: D3E10048 1D22256A
	v_mfma_f32_16x16x16_bf16 v[72:75], a[108:109], a[20:21], v[72:75]// 0000000073B4: D3E10048 1D22296C
	ds_read_b128 v[136:139], v18 offset:15744                  // 0000000073BC: D9FE3D80 88000012
	ds_write_b32 v17, v43 offset:3232                          // 0000000073C4: D81A0CA0 00002B11
	v_mfma_f32_16x16x16_bf16 v[72:75], a[110:111], a[22:23], v[72:75]// 0000000073CC: D3E10048 1D222D6E
	s_cmp_lt_i32 s74, 12                                       // 0000000073D4: BF048C4A
	s_cbranch_scc0 label_0E5D                                  // 0000000073D8: BF8400E6
	s_mov_b32 s60, 0xffe0fffe                                  // 0000000073DC: BEBC00FF FFE0FFFE
	s_mov_b32 s61, 0xe000fe00                                  // 0000000073E4: BEBD00FF E000FE00
	s_nop 0                                                    // 0000000073EC: BF800000
	s_add_u32 s62, 0, s47                                      // 0000000073F0: 803E2F80
	s_cmp_lt_i32 s74, s62                                      // 0000000073F4: BF043E4A
	s_cbranch_scc1 label_0DA7                                  // 0000000073F8: BF850028
	s_cmp_eq_i32 s74, s62                                      // 0000000073FC: BF003E4A
	s_cbranch_scc1 label_0D8C                                  // 000000007400: BF85000B
	s_add_u32 s62, 4, s47                                      // 000000007404: 803E2F84
	s_cmp_lt_i32 s74, s62                                      // 000000007408: BF043E4A
	s_cbranch_scc1 label_0DC7                                  // 00000000740C: BF850043
	s_cmp_eq_i32 s74, s62                                      // 000000007410: BF003E4A
	s_cbranch_scc1 label_0DAC                                  // 000000007414: BF850026
	s_add_u32 s62, 8, s47                                      // 000000007418: 803E2F88
	s_cmp_lt_i32 s74, s62                                      // 00000000741C: BF043E4A
	s_cbranch_scc1 label_0DE7                                  // 000000007420: BF85005E
	s_cmp_eq_i32 s74, s62                                      // 000000007424: BF003E4A
	s_cbranch_scc1 label_0DCC                                  // 000000007428: BF850041
	s_branch label_0DEC                                        // 00000000742C: BF820060

0000000000007430 <label_0D8C>:
	v_cndmask_b32_e64 v52, v52, v178, s[60:61]                 // 000000007430: D1000034 00F36534
	s_lshl_b32 s60, s60, 1                                     // 000000007438: 8E3C813C
	s_lshl_b32 s61, s61, 1                                     // 00000000743C: 8E3D813D
	s_and_b32 s60, 0xfffeffff, s60                             // 000000007440: 863C3CFF FFFEFFFF
	s_and_b32 s61, 0xfffeffff, s61                             // 000000007448: 863D3DFF FFFEFFFF
	v_cndmask_b32_e64 v53, v53, v178, s[60:61]                 // 000000007450: D1000035 00F36535
	s_lshl_b32 s60, s60, 1                                     // 000000007458: 8E3C813C
	s_lshl_b32 s61, s61, 1                                     // 00000000745C: 8E3D813D
	s_and_b32 s60, 0xfffeffff, s60                             // 000000007460: 863C3CFF FFFEFFFF
	s_and_b32 s61, 0xfffeffff, s61                             // 000000007468: 863D3DFF FFFEFFFF
	v_cndmask_b32_e64 v54, v54, v178, s[60:61]                 // 000000007470: D1000036 00F36536
	s_lshl_b32 s60, s60, 1                                     // 000000007478: 8E3C813C
	s_lshl_b32 s61, s61, 1                                     // 00000000747C: 8E3D813D
	s_and_b32 s60, 0xfffeffff, s60                             // 000000007480: 863C3CFF FFFEFFFF
	s_and_b32 s61, 0xfffeffff, s61                             // 000000007488: 863D3DFF FFFEFFFF
	v_cndmask_b32_e64 v55, v55, v178, s[60:61]                 // 000000007490: D1000037 00F36537
	s_branch label_0DC7                                        // 000000007498: BF820020

000000000000749c <label_0DA7>:
	v_mov_b32_e32 v52, v178                                    // 00000000749C: 7E6803B2
	v_mov_b32_e32 v53, v178                                    // 0000000074A0: 7E6A03B2
	v_mov_b32_e32 v54, v178                                    // 0000000074A4: 7E6C03B2
	v_mov_b32_e32 v55, v178                                    // 0000000074A8: 7E6E03B2
	s_branch label_0DC7                                        // 0000000074AC: BF82001B

00000000000074b0 <label_0DAC>:
	v_cndmask_b32_e64 v56, v56, v178, s[60:61]                 // 0000000074B0: D1000038 00F36538
	s_lshl_b32 s60, s60, 1                                     // 0000000074B8: 8E3C813C
	s_lshl_b32 s61, s61, 1                                     // 0000000074BC: 8E3D813D
	s_and_b32 s60, 0xfffeffff, s60                             // 0000000074C0: 863C3CFF FFFEFFFF
	s_and_b32 s61, 0xfffeffff, s61                             // 0000000074C8: 863D3DFF FFFEFFFF
	v_cndmask_b32_e64 v57, v57, v178, s[60:61]                 // 0000000074D0: D1000039 00F36539
	s_lshl_b32 s60, s60, 1                                     // 0000000074D8: 8E3C813C
	s_lshl_b32 s61, s61, 1                                     // 0000000074DC: 8E3D813D
	s_and_b32 s60, 0xfffeffff, s60                             // 0000000074E0: 863C3CFF FFFEFFFF
	s_and_b32 s61, 0xfffeffff, s61                             // 0000000074E8: 863D3DFF FFFEFFFF
	v_cndmask_b32_e64 v58, v58, v178, s[60:61]                 // 0000000074F0: D100003A 00F3653A
	s_lshl_b32 s60, s60, 1                                     // 0000000074F8: 8E3C813C
	s_lshl_b32 s61, s61, 1                                     // 0000000074FC: 8E3D813D
	s_and_b32 s60, 0xfffeffff, s60                             // 000000007500: 863C3CFF FFFEFFFF
	s_and_b32 s61, 0xfffeffff, s61                             // 000000007508: 863D3DFF FFFEFFFF
	v_cndmask_b32_e64 v59, v59, v178, s[60:61]                 // 000000007510: D100003B 00F3653B
	s_branch label_0DE7                                        // 000000007518: BF820020

000000000000751c <label_0DC7>:
	v_mov_b32_e32 v56, v178                                    // 00000000751C: 7E7003B2
	v_mov_b32_e32 v57, v178                                    // 000000007520: 7E7203B2
	v_mov_b32_e32 v58, v178                                    // 000000007524: 7E7403B2
	v_mov_b32_e32 v59, v178                                    // 000000007528: 7E7603B2
	s_branch label_0DE7                                        // 00000000752C: BF82001B

0000000000007530 <label_0DCC>:
	v_cndmask_b32_e64 v60, v60, v178, s[60:61]                 // 000000007530: D100003C 00F3653C
	s_lshl_b32 s60, s60, 1                                     // 000000007538: 8E3C813C
	s_lshl_b32 s61, s61, 1                                     // 00000000753C: 8E3D813D
	s_and_b32 s60, 0xfffeffff, s60                             // 000000007540: 863C3CFF FFFEFFFF
	s_and_b32 s61, 0xfffeffff, s61                             // 000000007548: 863D3DFF FFFEFFFF
	v_cndmask_b32_e64 v61, v61, v178, s[60:61]                 // 000000007550: D100003D 00F3653D
	s_lshl_b32 s60, s60, 1                                     // 000000007558: 8E3C813C
	s_lshl_b32 s61, s61, 1                                     // 00000000755C: 8E3D813D
	s_and_b32 s60, 0xfffeffff, s60                             // 000000007560: 863C3CFF FFFEFFFF
	s_and_b32 s61, 0xfffeffff, s61                             // 000000007568: 863D3DFF FFFEFFFF
	v_cndmask_b32_e64 v62, v62, v178, s[60:61]                 // 000000007570: D100003E 00F3653E
	s_lshl_b32 s60, s60, 1                                     // 000000007578: 8E3C813C
	s_lshl_b32 s61, s61, 1                                     // 00000000757C: 8E3D813D
	s_and_b32 s60, 0xfffeffff, s60                             // 000000007580: 863C3CFF FFFEFFFF
	s_and_b32 s61, 0xfffeffff, s61                             // 000000007588: 863D3DFF FFFEFFFF
	v_cndmask_b32_e64 v63, v63, v178, s[60:61]                 // 000000007590: D100003F 00F3653F
	s_branch label_0DEC                                        // 000000007598: BF820005

000000000000759c <label_0DE7>:
	v_mov_b32_e32 v60, v178                                    // 00000000759C: 7E7803B2
	v_mov_b32_e32 v61, v178                                    // 0000000075A0: 7E7A03B2
	v_mov_b32_e32 v62, v178                                    // 0000000075A4: 7E7C03B2
	v_mov_b32_e32 v63, v178                                    // 0000000075A8: 7E7E03B2
	s_branch label_0DEC                                        // 0000000075AC: BF820000

00000000000075b0 <label_0DEC>:
	s_addk_i32 s74, 0x1                                        // 0000000075B0: B74A0001
	s_add_u32 s62, 0, s47                                      // 0000000075B4: 803E2F80
	s_cmp_lt_i32 s74, s62                                      // 0000000075B8: BF043E4A
	s_cbranch_scc1 label_0E18                                  // 0000000075BC: BF850028
	s_cmp_eq_i32 s74, s62                                      // 0000000075C0: BF003E4A
	s_cbranch_scc1 label_0DFD                                  // 0000000075C4: BF85000B
	s_add_u32 s62, 4, s47                                      // 0000000075C8: 803E2F84
	s_cmp_lt_i32 s74, s62                                      // 0000000075CC: BF043E4A
	s_cbranch_scc1 label_0E38                                  // 0000000075D0: BF850043
	s_cmp_eq_i32 s74, s62                                      // 0000000075D4: BF003E4A
	s_cbranch_scc1 label_0E1D                                  // 0000000075D8: BF850026
	s_add_u32 s62, 8, s47                                      // 0000000075DC: 803E2F88
	s_cmp_lt_i32 s74, s62                                      // 0000000075E0: BF043E4A
	s_cbranch_scc1 label_0E58                                  // 0000000075E4: BF85005E
	s_cmp_eq_i32 s74, s62                                      // 0000000075E8: BF003E4A
	s_cbranch_scc1 label_0E3D                                  // 0000000075EC: BF850041
	s_branch label_0E5D                                        // 0000000075F0: BF820060

00000000000075f4 <label_0DFD>:
	v_cndmask_b32_e64 v64, v64, v178, s[60:61]                 // 0000000075F4: D1000040 00F36540
	s_lshl_b32 s60, s60, 1                                     // 0000000075FC: 8E3C813C
	s_lshl_b32 s61, s61, 1                                     // 000000007600: 8E3D813D
	s_and_b32 s60, 0xfffeffff, s60                             // 000000007604: 863C3CFF FFFEFFFF
	s_and_b32 s61, 0xfffeffff, s61                             // 00000000760C: 863D3DFF FFFEFFFF
	v_cndmask_b32_e64 v65, v65, v178, s[60:61]                 // 000000007614: D1000041 00F36541
	s_lshl_b32 s60, s60, 1                                     // 00000000761C: 8E3C813C
	s_lshl_b32 s61, s61, 1                                     // 000000007620: 8E3D813D
	s_and_b32 s60, 0xfffeffff, s60                             // 000000007624: 863C3CFF FFFEFFFF
	s_and_b32 s61, 0xfffeffff, s61                             // 00000000762C: 863D3DFF FFFEFFFF
	v_cndmask_b32_e64 v66, v66, v178, s[60:61]                 // 000000007634: D1000042 00F36542
	s_lshl_b32 s60, s60, 1                                     // 00000000763C: 8E3C813C
	s_lshl_b32 s61, s61, 1                                     // 000000007640: 8E3D813D
	s_and_b32 s60, 0xfffeffff, s60                             // 000000007644: 863C3CFF FFFEFFFF
	s_and_b32 s61, 0xfffeffff, s61                             // 00000000764C: 863D3DFF FFFEFFFF
	v_cndmask_b32_e64 v67, v67, v178, s[60:61]                 // 000000007654: D1000043 00F36543
	s_branch label_0E38                                        // 00000000765C: BF820020

0000000000007660 <label_0E18>:
	v_mov_b32_e32 v64, v178                                    // 000000007660: 7E8003B2
	v_mov_b32_e32 v65, v178                                    // 000000007664: 7E8203B2
	v_mov_b32_e32 v66, v178                                    // 000000007668: 7E8403B2
	v_mov_b32_e32 v67, v178                                    // 00000000766C: 7E8603B2
	s_branch label_0E38                                        // 000000007670: BF82001B

0000000000007674 <label_0E1D>:
	v_cndmask_b32_e64 v68, v68, v178, s[60:61]                 // 000000007674: D1000044 00F36544
	s_lshl_b32 s60, s60, 1                                     // 00000000767C: 8E3C813C
	s_lshl_b32 s61, s61, 1                                     // 000000007680: 8E3D813D
	s_and_b32 s60, 0xfffeffff, s60                             // 000000007684: 863C3CFF FFFEFFFF
	s_and_b32 s61, 0xfffeffff, s61                             // 00000000768C: 863D3DFF FFFEFFFF
	v_cndmask_b32_e64 v69, v69, v178, s[60:61]                 // 000000007694: D1000045 00F36545
	s_lshl_b32 s60, s60, 1                                     // 00000000769C: 8E3C813C
	s_lshl_b32 s61, s61, 1                                     // 0000000076A0: 8E3D813D
	s_and_b32 s60, 0xfffeffff, s60                             // 0000000076A4: 863C3CFF FFFEFFFF
	s_and_b32 s61, 0xfffeffff, s61                             // 0000000076AC: 863D3DFF FFFEFFFF
	v_cndmask_b32_e64 v70, v70, v178, s[60:61]                 // 0000000076B4: D1000046 00F36546
	s_lshl_b32 s60, s60, 1                                     // 0000000076BC: 8E3C813C
	s_lshl_b32 s61, s61, 1                                     // 0000000076C0: 8E3D813D
	s_and_b32 s60, 0xfffeffff, s60                             // 0000000076C4: 863C3CFF FFFEFFFF
	s_and_b32 s61, 0xfffeffff, s61                             // 0000000076CC: 863D3DFF FFFEFFFF
	v_cndmask_b32_e64 v71, v71, v178, s[60:61]                 // 0000000076D4: D1000047 00F36547
	s_branch label_0E58                                        // 0000000076DC: BF820020

00000000000076e0 <label_0E38>:
	v_mov_b32_e32 v68, v178                                    // 0000000076E0: 7E8803B2
	v_mov_b32_e32 v69, v178                                    // 0000000076E4: 7E8A03B2
	v_mov_b32_e32 v70, v178                                    // 0000000076E8: 7E8C03B2
	v_mov_b32_e32 v71, v178                                    // 0000000076EC: 7E8E03B2
	s_branch label_0E58                                        // 0000000076F0: BF82001B

00000000000076f4 <label_0E3D>:
	v_cndmask_b32_e64 v72, v72, v178, s[60:61]                 // 0000000076F4: D1000048 00F36548
	s_lshl_b32 s60, s60, 1                                     // 0000000076FC: 8E3C813C
	s_lshl_b32 s61, s61, 1                                     // 000000007700: 8E3D813D
	s_and_b32 s60, 0xfffeffff, s60                             // 000000007704: 863C3CFF FFFEFFFF
	s_and_b32 s61, 0xfffeffff, s61                             // 00000000770C: 863D3DFF FFFEFFFF
	v_cndmask_b32_e64 v73, v73, v178, s[60:61]                 // 000000007714: D1000049 00F36549
	s_lshl_b32 s60, s60, 1                                     // 00000000771C: 8E3C813C
	s_lshl_b32 s61, s61, 1                                     // 000000007720: 8E3D813D
	s_and_b32 s60, 0xfffeffff, s60                             // 000000007724: 863C3CFF FFFEFFFF
	s_and_b32 s61, 0xfffeffff, s61                             // 00000000772C: 863D3DFF FFFEFFFF
	v_cndmask_b32_e64 v74, v74, v178, s[60:61]                 // 000000007734: D100004A 00F3654A
	s_lshl_b32 s60, s60, 1                                     // 00000000773C: 8E3C813C
	s_lshl_b32 s61, s61, 1                                     // 000000007740: 8E3D813D
	s_and_b32 s60, 0xfffeffff, s60                             // 000000007744: 863C3CFF FFFEFFFF
	s_and_b32 s61, 0xfffeffff, s61                             // 00000000774C: 863D3DFF FFFEFFFF
	v_cndmask_b32_e64 v75, v75, v178, s[60:61]                 // 000000007754: D100004B 00F3654B
	s_branch label_0E5D                                        // 00000000775C: BF820005

0000000000007760 <label_0E58>:
	v_mov_b32_e32 v72, v178                                    // 000000007760: 7E9003B2
	v_mov_b32_e32 v73, v178                                    // 000000007764: 7E9203B2
	v_mov_b32_e32 v74, v178                                    // 000000007768: 7E9403B2
	v_mov_b32_e32 v75, v178                                    // 00000000776C: 7E9603B2
	s_branch label_0E5D                                        // 000000007770: BF820000

0000000000007774 <label_0E5D>:
	s_addk_i32 s74, 0x1                                        // 000000007774: B74A0001
	s_waitcnt lgkmcnt(8)                                       // 000000007778: BF8CC87F
	s_barrier                                                  // 00000000777C: BF8A0000
	v_mfma_f32_16x16x16_bf16 v[76:79], v[108:109], a[72:73], 0 // 000000007780: D3E1004C 1202916C
	v_fma_f32 v52, v52, s57, -v140                             // 000000007788: D1CB0034 86307334
	v_fma_f32 v53, v53, s57, -v141                             // 000000007790: D1CB0035 86347335
	v_fma_f32 v54, v54, s57, -v142                             // 000000007798: D1CB0036 86387336
	v_fma_f32 v55, v55, s57, -v143                             // 0000000077A0: D1CB0037 863C7337
	v_fma_f32 v56, v56, s57, -v140                             // 0000000077A8: D1CB0038 86307338
	v_fma_f32 v57, v57, s57, -v141                             // 0000000077B0: D1CB0039 86347339
	v_mfma_f32_16x16x16_bf16 v[76:79], v[110:111], a[74:75], v[76:79]// 0000000077B8: D3E1004C 1532956E
	ds_read_b128 a[96:99], v18 offset:4352                     // 0000000077C0: DBFE1100 60000012
	ds_read_b128 a[100:103], v18 offset:4864                   // 0000000077C8: DBFE1300 64000012
	v_mfma_f32_16x16x16_bf16 v[76:79], v[112:113], a[76:77], v[76:79]// 0000000077D0: D3E1004C 15329970
	v_fma_f32 v58, v58, s57, -v142                             // 0000000077D8: D1CB003A 8638733A
	v_fma_f32 v59, v59, s57, -v143                             // 0000000077E0: D1CB003B 863C733B
	v_fma_f32 v60, v60, s57, -v140                             // 0000000077E8: D1CB003C 8630733C
	v_fma_f32 v61, v61, s57, -v141                             // 0000000077F0: D1CB003D 8634733D
	v_fma_f32 v62, v62, s57, -v142                             // 0000000077F8: D1CB003E 8638733E
	v_fma_f32 v63, v63, s57, -v143                             // 000000007800: D1CB003F 863C733F
	v_mfma_f32_16x16x16_bf16 v[76:79], v[114:115], a[78:79], v[76:79]// 000000007808: D3E1004C 15329D72
	v_fma_f32 v64, v64, s57, -v144                             // 000000007810: D1CB0040 86407340
	v_fma_f32 v65, v65, s57, -v145                             // 000000007818: D1CB0041 86447341
	v_fma_f32 v66, v66, s57, -v146                             // 000000007820: D1CB0042 86487342
	v_fma_f32 v67, v67, s57, -v147                             // 000000007828: D1CB0043 864C7343
	v_fma_f32 v68, v68, s57, -v144                             // 000000007830: D1CB0044 86407344
	v_fma_f32 v69, v69, s57, -v145                             // 000000007838: D1CB0045 86447345
	v_mfma_f32_16x16x16_bf16 v[80:83], v[108:109], a[80:81], 0 // 000000007840: D3E10050 1202A16C
	v_fma_f32 v70, v70, s57, -v146                             // 000000007848: D1CB0046 86487346
	v_fma_f32 v71, v71, s57, -v147                             // 000000007850: D1CB0047 864C7347
	v_fma_f32 v72, v72, s57, -v144                             // 000000007858: D1CB0048 86407348
	v_fma_f32 v73, v73, s57, -v145                             // 000000007860: D1CB0049 86447349
	v_fma_f32 v74, v74, s57, -v146                             // 000000007868: D1CB004A 8648734A
	v_fma_f32 v75, v75, s57, -v147                             // 000000007870: D1CB004B 864C734B
	v_mfma_f32_16x16x16_bf16 v[80:83], v[110:111], a[82:83], v[80:83]// 000000007878: D3E10050 1542A56E
	ds_read_b128 a[104:107], v18 offset:6528                   // 000000007880: DBFE1980 68000012
	ds_read_b128 a[108:111], v18 offset:7040                   // 000000007888: DBFE1B80 6C000012
	v_mfma_f32_16x16x16_bf16 v[80:83], v[112:113], a[84:85], v[80:83]// 000000007890: D3E10050 1542A970
	v_exp_f32_e32 v52, v52                                     // 000000007898: 7E684134
	v_exp_f32_e32 v53, v53                                     // 00000000789C: 7E6A4135
	v_mfma_f32_16x16x16_bf16 v[80:83], v[114:115], a[86:87], v[80:83]// 0000000078A0: D3E10050 1542AD72
	v_exp_f32_e32 v54, v54                                     // 0000000078A8: 7E6C4136
	v_exp_f32_e32 v55, v55                                     // 0000000078AC: 7E6E4137
	v_mfma_f32_16x16x16_bf16 v[84:87], v[108:109], a[88:89], 0 // 0000000078B0: D3E10054 1202B16C
	v_exp_f32_e32 v56, v56                                     // 0000000078B8: 7E704138
	v_exp_f32_e32 v57, v57                                     // 0000000078BC: 7E724139
	v_mfma_f32_16x16x16_bf16 v[84:87], v[110:111], a[90:91], v[84:87]// 0000000078C0: D3E10054 1552B56E
	ds_read_b32 v156, v25 offset:31232                         // 0000000078C8: D86C7A00 9C000019
	ds_read_b32 v157, v25 offset:31248                         // 0000000078D0: D86C7A10 9D000019
	v_mfma_f32_16x16x16_bf16 v[84:87], v[112:113], a[92:93], v[84:87]// 0000000078D8: D3E10054 1552B970
	v_exp_f32_e32 v58, v58                                     // 0000000078E0: 7E74413A
	v_exp_f32_e32 v59, v59                                     // 0000000078E4: 7E76413B
	v_mfma_f32_16x16x16_bf16 v[84:87], v[114:115], a[94:95], v[84:87]// 0000000078E8: D3E10054 1552BD72
	ds_read_b32 v158, v25 offset:31264                         // 0000000078F0: D86C7A20 9E000019
	ds_read_b32 v159, v25 offset:31280                         // 0000000078F8: D86C7A30 9F000019
	v_mfma_f32_16x16x16_bf16 v[88:91], v[116:117], a[72:73], 0 // 000000007900: D3E10058 12029174
	v_exp_f32_e32 v60, v60                                     // 000000007908: 7E78413C
	v_exp_f32_e32 v61, v61                                     // 00000000790C: 7E7A413D
	v_mfma_f32_16x16x16_bf16 v[88:91], v[118:119], a[74:75], v[88:91]// 000000007910: D3E10058 15629576
	v_exp_f32_e32 v62, v62                                     // 000000007918: 7E7C413E
	v_exp_f32_e32 v63, v63                                     // 00000000791C: 7E7E413F
	v_mfma_f32_16x16x16_bf16 v[88:91], v[120:121], a[76:77], v[88:91]// 000000007920: D3E10058 15629978
	v_exp_f32_e32 v64, v64                                     // 000000007928: 7E804140
	v_exp_f32_e32 v65, v65                                     // 00000000792C: 7E824141
	v_mfma_f32_16x16x16_bf16 v[88:91], v[122:123], a[78:79], v[88:91]// 000000007930: D3E10058 15629D7A
	v_exp_f32_e32 v66, v66                                     // 000000007938: 7E844142
	v_exp_f32_e32 v67, v67                                     // 00000000793C: 7E864143
	v_mfma_f32_16x16x16_bf16 v[92:95], v[116:117], a[80:81], 0 // 000000007940: D3E1005C 1202A174
	v_exp_f32_e32 v68, v68                                     // 000000007948: 7E884144
	v_exp_f32_e32 v69, v69                                     // 00000000794C: 7E8A4145
	v_mfma_f32_16x16x16_bf16 v[92:95], v[118:119], a[82:83], v[92:95]// 000000007950: D3E1005C 1572A576
	v_exp_f32_e32 v70, v70                                     // 000000007958: 7E8C4146
	v_exp_f32_e32 v71, v71                                     // 00000000795C: 7E8E4147
	v_mfma_f32_16x16x16_bf16 v[92:95], v[120:121], a[84:85], v[92:95]// 000000007960: D3E1005C 1572A978
	v_exp_f32_e32 v72, v72                                     // 000000007968: 7E904148
	v_exp_f32_e32 v73, v73                                     // 00000000796C: 7E924149
	v_mfma_f32_16x16x16_bf16 v[92:95], v[122:123], a[86:87], v[92:95]// 000000007970: D3E1005C 1572AD7A
	v_exp_f32_e32 v74, v74                                     // 000000007978: 7E94414A
	v_exp_f32_e32 v75, v75                                     // 00000000797C: 7E96414B
	v_mfma_f32_16x16x16_bf16 v[96:99], v[116:117], a[88:89], 0 // 000000007980: D3E10060 1202B174
	v_perm_b32 v164, v53, v52, s64                             // 000000007988: D1ED00A4 01026935
	v_perm_b32 v165, v55, v54, s64                             // 000000007990: D1ED00A5 01026D37
	v_perm_b32 v166, v57, v56, s64                             // 000000007998: D1ED00A6 01027139
	v_perm_b32 v167, v59, v58, s64                             // 0000000079A0: D1ED00A7 0102753B
	v_perm_b32 v168, v61, v60, s64                             // 0000000079A8: D1ED00A8 0102793D
	v_perm_b32 v169, v63, v62, s64                             // 0000000079B0: D1ED00A9 01027D3F
	v_mfma_f32_16x16x16_bf16 v[96:99], v[118:119], a[90:91], v[96:99]// 0000000079B8: D3E10060 1582B576
	v_perm_b32 v170, v65, v64, s64                             // 0000000079C0: D1ED00AA 01028141
	v_perm_b32 v171, v67, v66, s64                             // 0000000079C8: D1ED00AB 01028543
	v_perm_b32 v172, v69, v68, s64                             // 0000000079D0: D1ED00AC 01028945
	v_perm_b32 v173, v71, v70, s64                             // 0000000079D8: D1ED00AD 01028D47
	v_perm_b32 v174, v73, v72, s64                             // 0000000079E0: D1ED00AE 01029149
	v_perm_b32 v175, v75, v74, s64                             // 0000000079E8: D1ED00AF 0102954B
	v_mfma_f32_16x16x16_bf16 v[96:99], v[120:121], a[92:93], v[96:99]// 0000000079F0: D3E10060 1582B978
	s_add_u32 s32, s66, s32                                    // 0000000079F8: 80202042
	s_addc_u32 s33, 0, s33                                     // 0000000079FC: 82212180
	v_mfma_f32_16x16x16_bf16 v[96:99], v[122:123], a[94:95], v[96:99]// 000000007A00: D3E10060 1582BD7A
	s_waitcnt lgkmcnt(0)                                       // 000000007A08: BF8CC07F
	s_barrier                                                  // 000000007A0C: BF8A0000
	v_mfma_f32_16x16x16_bf16 v[180:183], v[124:125], v[164:165], v[180:183]// 000000007A10: D3E100B4 06D3497C
	v_subrev_f32_dpp v76, v176, v76 quad_perm:[0,0,0,0] row_mask:0xf bank_mask:0xf// 000000007A18: 069898FA FF0000B0
	v_subrev_f32_dpp v77, v176, v77 quad_perm:[1,1,1,1] row_mask:0xf bank_mask:0xf// 000000007A20: 069A9AFA FF0055B0
	v_subrev_f32_dpp v78, v176, v78 quad_perm:[2,2,2,2] row_mask:0xf bank_mask:0xf// 000000007A28: 069C9CFA FF00AAB0
	v_subrev_f32_dpp v79, v176, v79 quad_perm:[3,3,3,3] row_mask:0xf bank_mask:0xf// 000000007A30: 069E9EFA FF00FFB0
	v_subrev_f32_dpp v80, v176, v80 quad_perm:[0,0,0,0] row_mask:0xf bank_mask:0xf// 000000007A38: 06A0A0FA FF0000B0
	v_subrev_f32_dpp v81, v176, v81 quad_perm:[1,1,1,1] row_mask:0xf bank_mask:0xf// 000000007A40: 06A2A2FA FF0055B0
	v_mfma_f32_16x16x16_bf16 v[184:187], v[126:127], v[164:165], v[184:187]// 000000007A48: D3E100B8 06E3497E
	v_subrev_f32_dpp v82, v176, v82 quad_perm:[2,2,2,2] row_mask:0xf bank_mask:0xf// 000000007A50: 06A4A4FA FF00AAB0
	v_subrev_f32_dpp v83, v176, v83 quad_perm:[3,3,3,3] row_mask:0xf bank_mask:0xf// 000000007A58: 06A6A6FA FF00FFB0
	v_subrev_f32_dpp v84, v176, v84 quad_perm:[0,0,0,0] row_mask:0xf bank_mask:0xf// 000000007A60: 06A8A8FA FF0000B0
	v_subrev_f32_dpp v85, v176, v85 quad_perm:[1,1,1,1] row_mask:0xf bank_mask:0xf// 000000007A68: 06AAAAFA FF0055B0
	v_subrev_f32_dpp v86, v176, v86 quad_perm:[2,2,2,2] row_mask:0xf bank_mask:0xf// 000000007A70: 06ACACFA FF00AAB0
	v_subrev_f32_dpp v87, v176, v87 quad_perm:[3,3,3,3] row_mask:0xf bank_mask:0xf// 000000007A78: 06AEAEFA FF00FFB0
	v_mfma_f32_16x16x16_bf16 v[188:191], v[128:129], v[164:165], v[188:191]// 000000007A80: D3E100BC 06F34980
	v_mul_f32_e32 v76, v52, v76                                // 000000007A88: 0A989934
	v_mul_f32_e32 v77, v53, v77                                // 000000007A8C: 0A9A9B35
	v_mul_f32_e32 v78, v54, v78                                // 000000007A90: 0A9C9D36
	v_mul_f32_e32 v79, v55, v79                                // 000000007A94: 0A9E9F37
	v_mul_f32_e32 v80, v56, v80                                // 000000007A98: 0AA0A138
	v_mul_f32_e32 v81, v57, v81                                // 000000007A9C: 0AA2A339
	v_mfma_f32_16x16x16_bf16 v[192:195], v[130:131], v[164:165], v[192:195]// 000000007AA0: D3E100C0 07034982
	v_mul_f32_e32 v82, v58, v82                                // 000000007AA8: 0AA4A53A
	v_mul_f32_e32 v83, v59, v83                                // 000000007AAC: 0AA6A73B
	v_mul_f32_e32 v84, v60, v84                                // 000000007AB0: 0AA8A93C
	v_mul_f32_e32 v85, v61, v85                                // 000000007AB4: 0AAAAB3D
	v_mul_f32_e32 v86, v62, v86                                // 000000007AB8: 0AACAD3E
	v_mul_f32_e32 v87, v63, v87                                // 000000007ABC: 0AAEAF3F
	v_mfma_f32_16x16x16_bf16 v[196:199], v[124:125], v[166:167], v[196:199]// 000000007AC0: D3E100C4 07134D7C
	v_perm_b32 v76, v77, v76, s64                              // 000000007AC8: D1ED004C 0102994D
	v_perm_b32 v77, v79, v78, s64                              // 000000007AD0: D1ED004D 01029D4F
	v_perm_b32 v78, v81, v80, s64                              // 000000007AD8: D1ED004E 0102A151
	v_perm_b32 v79, v83, v82, s64                              // 000000007AE0: D1ED004F 0102A553
	v_perm_b32 v80, v85, v84, s64                              // 000000007AE8: D1ED0050 0102A955
	v_perm_b32 v81, v87, v86, s64                              // 000000007AF0: D1ED0051 0102AD57
	v_mfma_f32_16x16x16_bf16 v[200:203], v[126:127], v[166:167], v[200:203]// 000000007AF8: D3E100C8 07234D7E
	v_mov_b32_dpp v22, v76 quad_perm:[1,0,3,2] row_mask:0xf bank_mask:0xf// 000000007B00: 7E2C02FA FF00B14C
	v_perm_b32 v52, v22, v76, v21                              // 000000007B08: D1ED0034 04569916
	v_mov_b32_dpp v22, v77 quad_perm:[1,0,3,2] row_mask:0xf bank_mask:0xf// 000000007B10: 7E2C02FA FF00B14D
	v_perm_b32 v53, v22, v77, v21                              // 000000007B18: D1ED0035 04569B16
	v_mov_b32_dpp v22, v78 quad_perm:[1,0,3,2] row_mask:0xf bank_mask:0xf// 000000007B20: 7E2C02FA FF00B14E
	v_perm_b32 v54, v22, v78, v21                              // 000000007B28: D1ED0036 04569D16
	v_mfma_f32_16x16x16_bf16 v[204:207], v[128:129], v[166:167], v[204:207]// 000000007B30: D3E100CC 07334D80
	ds_write_b32 v24, v52 offset:17408                         // 000000007B38: D81A4400 00003418
	ds_write_b32 v24, v53 offset:17952                         // 000000007B40: D81A4620 00003518
	v_mfma_f32_16x16x16_bf16 v[208:211], v[130:131], v[166:167], v[208:211]// 000000007B48: D3E100D0 07434D82
	v_mov_b32_dpp v22, v79 quad_perm:[1,0,3,2] row_mask:0xf bank_mask:0xf// 000000007B50: 7E2C02FA FF00B14F
	v_perm_b32 v55, v22, v79, v21                              // 000000007B58: D1ED0037 04569F16
	v_mov_b32_dpp v22, v80 quad_perm:[1,0,3,2] row_mask:0xf bank_mask:0xf// 000000007B60: 7E2C02FA FF00B150
	v_perm_b32 v56, v22, v80, v21                              // 000000007B68: D1ED0038 0456A116
	v_mov_b32_dpp v22, v81 quad_perm:[1,0,3,2] row_mask:0xf bank_mask:0xf// 000000007B70: 7E2C02FA FF00B151
	v_perm_b32 v57, v22, v81, v21                              // 000000007B78: D1ED0039 0456A316
	v_mfma_f32_16x16x16_bf16 v[212:215], v[124:125], v[168:169], v[212:215]// 000000007B80: D3E100D4 0753517C
	ds_write_b32 v24, v54 offset:19712                         // 000000007B88: D81A4D00 00003618
	ds_write_b32 v24, v55 offset:20256                         // 000000007B90: D81A4F20 00003718
	v_mfma_f32_16x16x16_bf16 v[216:219], v[126:127], v[168:169], v[216:219]// 000000007B98: D3E100D8 0763517E
	v_subrev_f32_dpp v88, v177, v88 quad_perm:[0,0,0,0] row_mask:0xf bank_mask:0xf// 000000007BA0: 06B0B0FA FF0000B1
	v_subrev_f32_dpp v89, v177, v89 quad_perm:[1,1,1,1] row_mask:0xf bank_mask:0xf// 000000007BA8: 06B2B2FA FF0055B1
	v_subrev_f32_dpp v90, v177, v90 quad_perm:[2,2,2,2] row_mask:0xf bank_mask:0xf// 000000007BB0: 06B4B4FA FF00AAB1
	v_subrev_f32_dpp v91, v177, v91 quad_perm:[3,3,3,3] row_mask:0xf bank_mask:0xf// 000000007BB8: 06B6B6FA FF00FFB1
	v_subrev_f32_dpp v92, v177, v92 quad_perm:[0,0,0,0] row_mask:0xf bank_mask:0xf// 000000007BC0: 06B8B8FA FF0000B1
	v_subrev_f32_dpp v93, v177, v93 quad_perm:[1,1,1,1] row_mask:0xf bank_mask:0xf// 000000007BC8: 06BABAFA FF0055B1
	v_mfma_f32_16x16x16_bf16 v[220:223], v[128:129], v[168:169], v[220:223]// 000000007BD0: D3E100DC 07735180
	ds_write_b32 v24, v56 offset:22016                         // 000000007BD8: D81A5600 00003818
	ds_write_b32 v24, v57 offset:22560                         // 000000007BE0: D81A5820 00003918
	v_mfma_f32_16x16x16_bf16 v[224:227], v[130:131], v[168:169], v[224:227]// 000000007BE8: D3E100E0 07835182
	v_subrev_f32_dpp v94, v177, v94 quad_perm:[2,2,2,2] row_mask:0xf bank_mask:0xf// 000000007BF0: 06BCBCFA FF00AAB1
	v_subrev_f32_dpp v95, v177, v95 quad_perm:[3,3,3,3] row_mask:0xf bank_mask:0xf// 000000007BF8: 06BEBEFA FF00FFB1
	v_subrev_f32_dpp v96, v177, v96 quad_perm:[0,0,0,0] row_mask:0xf bank_mask:0xf// 000000007C00: 06C0C0FA FF0000B1
	v_subrev_f32_dpp v97, v177, v97 quad_perm:[1,1,1,1] row_mask:0xf bank_mask:0xf// 000000007C08: 06C2C2FA FF0055B1
	v_subrev_f32_dpp v98, v177, v98 quad_perm:[2,2,2,2] row_mask:0xf bank_mask:0xf// 000000007C10: 06C4C4FA FF00AAB1
	v_subrev_f32_dpp v99, v177, v99 quad_perm:[3,3,3,3] row_mask:0xf bank_mask:0xf// 000000007C18: 06C6C6FA FF00FFB1
	v_mfma_f32_16x16x16_bf16 v[180:183], v[132:133], v[170:171], v[180:183]// 000000007C20: D3E100B4 06D35584
	v_mul_f32_e32 v88, v64, v88                                // 000000007C28: 0AB0B140
	v_mul_f32_e32 v89, v65, v89                                // 000000007C2C: 0AB2B341
	v_mul_f32_e32 v90, v66, v90                                // 000000007C30: 0AB4B542
	v_mul_f32_e32 v91, v67, v91                                // 000000007C34: 0AB6B743
	v_mul_f32_e32 v92, v68, v92                                // 000000007C38: 0AB8B944
	v_mul_f32_e32 v93, v69, v93                                // 000000007C3C: 0ABABB45
	v_mfma_f32_16x16x16_bf16 v[184:187], v[134:135], v[170:171], v[184:187]// 000000007C40: D3E100B8 06E35586
	v_mul_f32_e32 v94, v70, v94                                // 000000007C48: 0ABCBD46
	v_mul_f32_e32 v95, v71, v95                                // 000000007C4C: 0ABEBF47
	v_mul_f32_e32 v96, v72, v96                                // 000000007C50: 0AC0C148
	v_mul_f32_e32 v97, v73, v97                                // 000000007C54: 0AC2C349
	v_mul_f32_e32 v98, v74, v98                                // 000000007C58: 0AC4C54A
	v_mul_f32_e32 v99, v75, v99                                // 000000007C5C: 0AC6C74B
	v_mfma_f32_16x16x16_bf16 v[188:191], v[136:137], v[170:171], v[188:191]// 000000007C60: D3E100BC 06F35588
	v_perm_b32 v82, v89, v88, s64                              // 000000007C68: D1ED0052 0102B159
	v_perm_b32 v83, v91, v90, s64                              // 000000007C70: D1ED0053 0102B55B
	v_perm_b32 v84, v93, v92, s64                              // 000000007C78: D1ED0054 0102B95D
	v_perm_b32 v85, v95, v94, s64                              // 000000007C80: D1ED0055 0102BD5F
	v_perm_b32 v86, v97, v96, s64                              // 000000007C88: D1ED0056 0102C161
	v_perm_b32 v87, v99, v98, s64                              // 000000007C90: D1ED0057 0102C563
	v_mfma_f32_16x16x16_bf16 v[192:195], v[138:139], v[170:171], v[192:195]// 000000007C98: D3E100C0 0703558A
	v_mov_b32_dpp v22, v82 quad_perm:[1,0,3,2] row_mask:0xf bank_mask:0xf// 000000007CA0: 7E2C02FA FF00B152
	v_perm_b32 v58, v22, v82, v21                              // 000000007CA8: D1ED003A 0456A516
	v_mov_b32_dpp v22, v83 quad_perm:[1,0,3,2] row_mask:0xf bank_mask:0xf// 000000007CB0: 7E2C02FA FF00B153
	v_perm_b32 v59, v22, v83, v21                              // 000000007CB8: D1ED003B 0456A716
	v_mov_b32_dpp v22, v84 quad_perm:[1,0,3,2] row_mask:0xf bank_mask:0xf// 000000007CC0: 7E2C02FA FF00B154
	v_perm_b32 v60, v22, v84, v21                              // 000000007CC8: D1ED003C 0456A916
	v_mfma_f32_16x16x16_bf16 v[196:199], v[132:133], v[172:173], v[196:199]// 000000007CD0: D3E100C4 07135984
	ds_write_b32 v24, v58 offset:24320                         // 000000007CD8: D81A5F00 00003A18
	ds_write_b32 v24, v59 offset:24864                         // 000000007CE0: D81A6120 00003B18
	v_mfma_f32_16x16x16_bf16 v[200:203], v[134:135], v[172:173], v[200:203]// 000000007CE8: D3E100C8 07235986
	v_mov_b32_dpp v22, v85 quad_perm:[1,0,3,2] row_mask:0xf bank_mask:0xf// 000000007CF0: 7E2C02FA FF00B155
	v_perm_b32 v61, v22, v85, v21                              // 000000007CF8: D1ED003D 0456AB16
	v_mov_b32_dpp v22, v86 quad_perm:[1,0,3,2] row_mask:0xf bank_mask:0xf// 000000007D00: 7E2C02FA FF00B156
	v_perm_b32 v62, v22, v86, v21                              // 000000007D08: D1ED003E 0456AD16
	v_mov_b32_dpp v22, v87 quad_perm:[1,0,3,2] row_mask:0xf bank_mask:0xf// 000000007D10: 7E2C02FA FF00B157
	v_perm_b32 v63, v22, v87, v21                              // 000000007D18: D1ED003F 0456AF16
	v_mfma_f32_16x16x16_bf16 v[204:207], v[136:137], v[172:173], v[204:207]// 000000007D20: D3E100CC 07335988
	ds_write_b32 v24, v60 offset:26624                         // 000000007D28: D81A6800 00003C18
	ds_write_b32 v24, v61 offset:27168                         // 000000007D30: D81A6A20 00003D18
	ds_write_b32 v24, v62 offset:28928                         // 000000007D38: D81A7100 00003E18
	ds_write_b32 v24, v63 offset:29472                         // 000000007D40: D81A7320 00003F18
	v_mfma_f32_16x16x16_bf16 v[208:211], v[138:139], v[172:173], v[208:211]// 000000007D48: D3E100D0 0743598A
	v_mfma_f32_16x16x16_bf16 v[212:215], v[132:133], v[174:175], v[212:215]// 000000007D50: D3E100D4 07535D84
	ds_write_b32 v19, v100 offset:4352                         // 000000007D58: D81A1100 00006413
	ds_write_b32 v19, v101 offset:5408                         // 000000007D60: D81A1520 00006513
	v_mfma_f32_16x16x16_bf16 v[216:219], v[134:135], v[174:175], v[216:219]// 000000007D68: D3E100D8 07635D86
	v_mfma_f32_16x16x16_bf16 v[220:223], v[136:137], v[174:175], v[220:223]// 000000007D70: D3E100DC 07735D88
	ds_write_b32 v19, v102 offset:6528                         // 000000007D78: D81A1980 00006613
	ds_write_b32 v19, v103 offset:7584                         // 000000007D80: D81A1DA0 00006713
	v_mfma_f32_16x16x16_bf16 v[224:227], v[138:139], v[174:175], v[224:227]// 000000007D88: D3E100E0 07835D8A
	s_nop 0                                                    // 000000007D90: BF800000
	s_nop 0                                                    // 000000007D94: BF800000
	s_nop 0                                                    // 000000007D98: BF800000
	s_barrier                                                  // 000000007D9C: BF8A0000
	v_mfma_f32_16x16x16_bf16 a[112:115], a[96:97], v[76:77], a[112:115]// 000000007DA0: D3E18070 0DC29960
	ds_read_b32 v140, v27 offset:36096                         // 000000007DA8: D86C8D00 8C00001B
	ds_read_b32 v144, v27 offset:36160                         // 000000007DB0: D86C8D40 9000001B
	ds_read_b32 v176, v27 offset:36352                         // 000000007DB8: D86C8E00 B000001B
	ds_read_b32 v177, v27 offset:36416                         // 000000007DC0: D86C8E40 B100001B
	v_mfma_f32_16x16x16_bf16 a[116:119], a[98:99], v[76:77], a[116:119]// 000000007DC8: D3E18074 0DD29962
	global_atomic_pk_add_bf16 v6, v156, s[32:33]               // 000000007DD0: DD488000 00209C06
	v_mfma_f32_16x16x16_bf16 a[120:123], a[100:101], v[76:77], a[120:123]// 000000007DD8: D3E18078 0DE29964
	s_waitcnt lgkmcnt(8)                                       // 000000007DE0: BF8CC87F
	s_barrier                                                  // 000000007DE4: BF8A0000
	v_mfma_f32_16x16x16_bf16 a[124:127], a[102:103], v[76:77], a[124:127]// 000000007DE8: D3E1807C 0DF29966
	v_mfma_f32_16x16x16_bf16 a[128:131], a[96:97], v[78:79], a[128:131]// 000000007DF0: D3E18080 0E029D60
	ds_read_b128 v[52:55], v23 offset:17408                    // 000000007DF8: D9FE4400 34000017
	v_mfma_f32_16x16x16_bf16 a[132:135], a[98:99], v[78:79], a[132:135]// 000000007E00: D3E18084 0E129D62
	v_mfma_f32_16x16x16_bf16 a[136:139], a[100:101], v[78:79], a[136:139]// 000000007E08: D3E18088 0E229D64
	ds_read_b128 v[56:59], v23 offset:18560                    // 000000007E10: D9FE4880 38000017
	v_mfma_f32_16x16x16_bf16 a[140:143], a[102:103], v[78:79], a[140:143]// 000000007E18: D3E1808C 0E329D66
	global_atomic_pk_add_bf16 v8, v157, s[32:33]               // 000000007E20: DD488000 00209D08
	v_mfma_f32_16x16x16_bf16 a[144:147], a[96:97], v[80:81], a[144:147]// 000000007E28: D3E18090 0E42A160
	ds_read_b128 v[60:63], v23 offset:19712                    // 000000007E30: D9FE4D00 3C000017
	v_mfma_f32_16x16x16_bf16 a[148:151], a[98:99], v[80:81], a[148:151]// 000000007E38: D3E18094 0E52A162
	v_mfma_f32_16x16x16_bf16 a[152:155], a[100:101], v[80:81], a[152:155]// 000000007E40: D3E18098 0E62A164
	ds_read_b128 v[64:67], v23 offset:20864                    // 000000007E48: D9FE5180 40000017
	v_mfma_f32_16x16x16_bf16 a[156:159], a[102:103], v[80:81], a[156:159]// 000000007E50: D3E1809C 0E72A166
	v_mfma_f32_16x16x16_bf16 a[112:115], a[104:105], v[82:83], a[112:115]// 000000007E58: D3E18070 0DC2A568
	ds_read_b128 v[68:71], v23 offset:22016                    // 000000007E60: D9FE5600 44000017
	v_mfma_f32_16x16x16_bf16 a[116:119], a[106:107], v[82:83], a[116:119]// 000000007E68: D3E18074 0DD2A56A
	global_atomic_pk_add_bf16 v10, v158, s[32:33]              // 000000007E70: DD488000 00209E0A
	v_mfma_f32_16x16x16_bf16 a[120:123], a[108:109], v[82:83], a[120:123]// 000000007E78: D3E18078 0DE2A56C
	ds_read_b128 v[72:75], v23 offset:23168                    // 000000007E80: D9FE5A80 48000017
	v_mfma_f32_16x16x16_bf16 a[124:127], a[110:111], v[82:83], a[124:127]// 000000007E88: D3E1807C 0DF2A56E
	v_mfma_f32_16x16x16_bf16 a[128:131], a[104:105], v[84:85], a[128:131]// 000000007E90: D3E18080 0E02A968
	ds_write_b32 v19, v104 offset:13056                        // 000000007E98: D81A3300 00006813
	v_mfma_f32_16x16x16_bf16 a[132:135], a[106:107], v[84:85], a[132:135]// 000000007EA0: D3E18084 0E12A96A
	v_mfma_f32_16x16x16_bf16 a[136:139], a[108:109], v[84:85], a[136:139]// 000000007EA8: D3E18088 0E22A96C
	ds_write_b32 v19, v105 offset:14112                        // 000000007EB0: D81A3720 00006913
	v_mfma_f32_16x16x16_bf16 a[140:143], a[110:111], v[84:85], a[140:143]// 000000007EB8: D3E1808C 0E32A96E
	global_atomic_pk_add_bf16 v12, v159, s[32:33]              // 000000007EC0: DD488000 00209F0C
	v_mfma_f32_16x16x16_bf16 a[144:147], a[104:105], v[86:87], a[144:147]// 000000007EC8: D3E18090 0E42AD68
	ds_write_b32 v19, v106 offset:15232                        // 000000007ED0: D81A3B80 00006A13
	v_mfma_f32_16x16x16_bf16 a[148:151], a[106:107], v[86:87], a[148:151]// 000000007ED8: D3E18094 0E52AD6A
	v_mfma_f32_16x16x16_bf16 a[152:155], a[108:109], v[86:87], a[152:155]// 000000007EE0: D3E18098 0E62AD6C
	ds_write_b32 v19, v107 offset:16288                        // 000000007EE8: D81A3FA0 00006B13
	v_mfma_f32_16x16x16_bf16 a[156:159], a[110:111], v[86:87], a[156:159]// 000000007EF0: D3E1809C 0E72AD6E
	s_waitcnt vmcnt(4) lgkmcnt(4)                              // 000000007EF8: BF8C0474
	s_barrier                                                  // 000000007EFC: BF8A0000
	v_mfma_f32_16x16x16_bf16 v[148:151], a[24:25], v[52:53], 0 // 000000007F00: D3E10094 0A026918
	ds_read_b128 a[96:99], v16                                 // 000000007F08: DBFE0000 60000010
	buffer_load_dword v40, v1, s[8:11], 0 idxen                // 000000007F10: E0502000 80022801
	v_mfma_f32_16x16x16_bf16 v[148:151], a[28:29], v[54:55], v[148:151]// 000000007F18: D3E10094 0E526D1C
	v_mul_f32_e32 v140, s49, v140                              // 000000007F20: 0B191831
	v_mul_f32_e32 v144, s49, v144                              // 000000007F24: 0B212031
	s_nop 0                                                    // 000000007F28: BF800000
	v_mfma_f32_16x16x16_bf16 v[148:151], a[32:33], v[56:57], v[148:151]// 000000007F2C: D3E10094 0E527120
	ds_read_b128 a[100:103], v16 offset:512                    // 000000007F34: DBFE0200 64000010
	buffer_load_dword v41, v2, s[8:11], 0 idxen                // 000000007F3C: E0502000 80022902
	v_mfma_f32_16x16x16_bf16 v[148:151], a[36:37], v[58:59], v[148:151]// 000000007F44: D3E10094 0E527524
	v_mfma_f32_16x16x16_bf16 v[148:151], a[40:41], v[60:61], v[148:151]// 000000007F4C: D3E10094 0E527928
	ds_read_b128 a[104:107], v16 offset:2176                   // 000000007F54: DBFE0880 68000010
	buffer_load_dword v42, v3, s[8:11], 0 idxen                // 000000007F5C: E0502000 80022A03
	v_mfma_f32_16x16x16_bf16 v[148:151], a[44:45], v[62:63], v[148:151]// 000000007F64: D3E10094 0E527D2C
	v_perm_b32 v100, v37, v36, s63                             // 000000007F6C: D1ED0064 00FE4925
	v_perm_b32 v101, v37, v36, s64                             // 000000007F74: D1ED0065 01024925
	v_mfma_f32_16x16x16_bf16 v[148:151], a[48:49], v[64:65], v[148:151]// 000000007F7C: D3E10094 0E528130
	ds_read_b128 a[108:111], v16 offset:2688                   // 000000007F84: DBFE0A80 6C000010
	buffer_load_dword v43, v4, s[8:11], 0 idxen                // 000000007F8C: E0502000 80022B04
	v_mfma_f32_16x16x16_bf16 v[148:151], a[52:53], v[66:67], v[148:151]// 000000007F94: D3E10094 0E528534
	v_perm_b32 v102, v39, v38, s63                             // 000000007F9C: D1ED0066 00FE4D27
	v_perm_b32 v103, v39, v38, s64                             // 000000007FA4: D1ED0067 01024D27
	v_mfma_f32_16x16x16_bf16 v[148:151], a[56:57], v[68:69], v[148:151]// 000000007FAC: D3E10094 0E528938
	ds_read_b128 v[108:111], v16 offset:8704                   // 000000007FB4: D9FE2200 6C000010
	buffer_load_dword v48, v1, s[20:23], 0 idxen               // 000000007FBC: E0502000 80053001
	v_mfma_f32_16x16x16_bf16 v[148:151], a[60:61], v[70:71], v[148:151]// 000000007FC4: D3E10094 0E528D3C
	v_perm_b32 v104, v45, v44, s63                             // 000000007FCC: D1ED0068 00FE592D
	v_perm_b32 v105, v45, v44, s64                             // 000000007FD4: D1ED0069 0102592D
	v_mfma_f32_16x16x16_bf16 v[148:151], a[64:65], v[72:73], v[148:151]// 000000007FDC: D3E10094 0E529140
	ds_read_b128 v[112:115], v16 offset:9216                   // 000000007FE4: D9FE2400 70000010
	buffer_load_dword v49, v2, s[20:23], 0 idxen               // 000000007FEC: E0502000 80053102
	v_mfma_f32_16x16x16_bf16 v[148:151], a[68:69], v[74:75], v[148:151]// 000000007FF4: D3E10094 0E529544
	v_perm_b32 v106, v47, v46, s63                             // 000000007FFC: D1ED006A 00FE5D2F
	v_perm_b32 v107, v47, v46, s64                             // 000000008004: D1ED006B 01025D2F
	v_mfma_f32_16x16x16_bf16 v[152:155], a[26:27], v[52:53], 0 // 00000000800C: D3E10098 0A02691A
	ds_read_b128 v[116:119], v16 offset:10880                  // 000000008014: D9FE2A80 74000010
	buffer_load_dword v50, v3, s[20:23], 0 idxen               // 00000000801C: E0502000 80053203
	v_mfma_f32_16x16x16_bf16 v[152:155], a[30:31], v[54:55], v[152:155]// 000000008024: D3E10098 0E626D1E
	v_mov_b32_dpp v143, v140 quad_perm:[3,3,3,3] row_mask:0xf bank_mask:0xf// 00000000802C: 7F1E02FA FF00FF8C
	v_mov_b32_dpp v142, v140 quad_perm:[2,2,2,2] row_mask:0xf bank_mask:0xf// 000000008034: 7F1C02FA FF00AA8C
	v_mov_b32_dpp v141, v140 quad_perm:[1,1,1,1] row_mask:0xf bank_mask:0xf// 00000000803C: 7F1A02FA FF00558C
	v_mov_b32_dpp v140, v140 quad_perm:[0,0,0,0] row_mask:0xf bank_mask:0xf// 000000008044: 7F1802FA FF00008C
	v_mfma_f32_16x16x16_bf16 v[152:155], a[34:35], v[56:57], v[152:155]// 00000000804C: D3E10098 0E627122
	ds_read_b128 v[120:123], v16 offset:11392                  // 000000008054: D9FE2C80 78000010
	buffer_load_dword v51, v4, s[20:23], 0 idxen               // 00000000805C: E0502000 80053304
	v_mfma_f32_16x16x16_bf16 v[152:155], a[38:39], v[58:59], v[152:155]// 000000008064: D3E10098 0E627526
	v_mov_b32_dpp v147, v144 quad_perm:[3,3,3,3] row_mask:0xf bank_mask:0xf// 00000000806C: 7F2602FA FF00FF90
	v_mov_b32_dpp v146, v144 quad_perm:[2,2,2,2] row_mask:0xf bank_mask:0xf// 000000008074: 7F2402FA FF00AA90
	v_mov_b32_dpp v145, v144 quad_perm:[1,1,1,1] row_mask:0xf bank_mask:0xf// 00000000807C: 7F2202FA FF005590
	v_mov_b32_dpp v144, v144 quad_perm:[0,0,0,0] row_mask:0xf bank_mask:0xf// 000000008084: 7F2002FA FF000090
	s_add_u32 s60, 0x80, s59                                   // 00000000808C: 803C3BFF 00000080
	v_mfma_f32_16x16x16_bf16 v[152:155], a[42:43], v[60:61], v[152:155]// 000000008094: D3E10098 0E62792A
	buffer_load_dword v15, s[24:27], 0 idxen lds               // 00000000809C: E0512000 8006000F
	v_mfma_f32_16x16x16_bf16 v[152:155], a[46:47], v[62:63], v[152:155]// 0000000080A4: D3E10098 0E627D2E
	s_cmp_lt_u32 s60, s58                                      // 0000000080AC: BF0A3A3C
	s_cselect_b32 s68, s68, 0                                  // 0000000080B0: 85448044
	s_cselect_b32 s69, s69, 0                                  // 0000000080B4: 85458045
	v_mfma_f32_16x16x16_bf16 v[152:155], a[50:51], v[64:65], v[152:155]// 0000000080B8: D3E10098 0E628132
	s_add_u32 s8, s68, s8                                      // 0000000080C0: 80080844
	s_addc_u32 s9, 0, s9                                       // 0000000080C4: 82090980
	v_mfma_f32_16x16x16_bf16 v[152:155], a[54:55], v[66:67], v[152:155]// 0000000080C8: D3E10098 0E628536
	s_add_u32 s20, s68, s20                                    // 0000000080D0: 80141444
	s_addc_u32 s21, 0, s21                                     // 0000000080D4: 82151580
	v_mfma_f32_16x16x16_bf16 v[152:155], a[58:59], v[68:69], v[152:155]// 0000000080D8: D3E10098 0E62893A
	s_mov_b32 m0, s80                                          // 0000000080E0: BEFC0050
	v_add_u32_e32 v15, s69, v15                                // 0000000080E4: 681E1E45
	v_mfma_f32_16x16x16_bf16 v[152:155], a[62:63], v[70:71], v[152:155]// 0000000080E8: D3E10098 0E628D3E
	s_cmp_ge_u32 s59, s73                                      // 0000000080F0: BF09493B
	s_cselect_b32 s66, s67, s66                                // 0000000080F4: 85424243
	v_mfma_f32_16x16x16_bf16 v[152:155], a[66:67], v[72:73], v[152:155]// 0000000080F8: D3E10098 0E629142
	s_addk_i32 s59, 0x20                                       // 000000008100: B73B0020
	s_nop 0                                                    // 000000008104: BF800000
	s_cmp_lt_i32 s59, s58                                      // 000000008108: BF043A3B
	v_mfma_f32_16x16x16_bf16 v[152:155], a[70:71], v[74:75], v[152:155]// 00000000810C: D3E10098 0E629546
	s_cbranch_scc0 label_0D14                                  // 000000008114: BF84FC4E
	s_waitcnt lgkmcnt(4)                                       // 000000008118: BF8CC47F
	s_barrier                                                  // 00000000811C: BF8A0000
	v_mfma_f32_16x16x16_bf16 v[52:55], a[96:97], a[0:1], 0     // 000000008120: D3E10034 1A020160
	v_mul_f32_e32 v148, s48, v148                              // 000000008128: 0B292830
	v_mul_f32_e32 v149, s48, v149                              // 00000000812C: 0B2B2A30
	v_mfma_f32_16x16x16_bf16 v[52:55], a[98:99], a[2:3], v[52:55]// 000000008130: D3E10034 1CD20562
	ds_write_b32 v17, v44 offset:8704                          // 000000008138: D81A2200 00002C11
	ds_write_b32 v17, v45 offset:9760                          // 000000008140: D81A2620 00002D11
	v_mfma_f32_16x16x16_bf16 v[52:55], a[100:101], a[4:5], v[52:55]// 000000008148: D3E10034 1CD20964
	v_mul_f32_e32 v150, s48, v150                              // 000000008150: 0B2D2C30
	v_mul_f32_e32 v151, s48, v151                              // 000000008154: 0B2F2E30
	v_mfma_f32_16x16x16_bf16 v[52:55], a[102:103], a[6:7], v[52:55]// 000000008158: D3E10034 1CD20D66
	ds_write_b32 v17, v46 offset:10880                         // 000000008160: D81A2A80 00002E11
	ds_write_b32 v17, v47 offset:11936                         // 000000008168: D81A2EA0 00002F11
	v_mfma_f32_16x16x16_bf16 v[56:59], a[96:97], a[8:9], 0     // 000000008170: D3E10038 1A021160
	v_mul_f32_e32 v152, s48, v152                              // 000000008178: 0B313030
	v_mul_f32_e32 v153, s48, v153                              // 00000000817C: 0B333230
	v_mfma_f32_16x16x16_bf16 v[56:59], a[98:99], a[10:11], v[56:59]// 000000008180: D3E10038 1CE21562
	v_mul_f32_e32 v154, s48, v154                              // 000000008188: 0B353430
	v_mul_f32_e32 v155, s48, v155                              // 00000000818C: 0B373630
	v_mfma_f32_16x16x16_bf16 v[56:59], a[100:101], a[12:13], v[56:59]// 000000008190: D3E10038 1CE21964
	v_perm_b32 v148, v149, v148, s64                           // 000000008198: D1ED0094 01032995
	v_perm_b32 v149, v151, v150, s64                           // 0000000081A0: D1ED0095 01032D97
	v_mfma_f32_16x16x16_bf16 v[56:59], a[102:103], a[14:15], v[56:59]// 0000000081A8: D3E10038 1CE21D66
	v_perm_b32 v150, v153, v152, s64                           // 0000000081B0: D1ED0096 01033199
	v_perm_b32 v151, v155, v154, s64                           // 0000000081B8: D1ED0097 0103359B
	v_mfma_f32_16x16x16_bf16 v[60:63], a[96:97], a[16:17], 0   // 0000000081C0: D3E1003C 1A022160
	v_mfma_f32_16x16x16_bf16 v[60:63], a[98:99], a[18:19], v[60:63]// 0000000081C8: D3E1003C 1CF22562
	ds_write_b64 v26, v[148:149] offset:31232                  // 0000000081D0: D89A7A00 0000941A
	v_mfma_f32_16x16x16_bf16 v[60:63], a[100:101], a[20:21], v[60:63]// 0000000081D8: D3E1003C 1CF22964
	v_mfma_f32_16x16x16_bf16 v[60:63], a[102:103], a[22:23], v[60:63]// 0000000081E0: D3E1003C 1CF22D66
	ds_write_b64 v26, v[150:151] offset:31776                  // 0000000081E8: D89A7C20 0000961A
	v_mfma_f32_16x16x16_bf16 v[64:67], a[104:105], a[0:1], 0   // 0000000081F0: D3E10040 1A020168
	v_mfma_f32_16x16x16_bf16 v[64:67], a[106:107], a[2:3], v[64:67]// 0000000081F8: D3E10040 1D02056A
	ds_read_b128 v[124:127], v18 offset:13056                  // 000000008200: D9FE3300 7C000012
	ds_write_b32 v17, v36                                      // 000000008208: D81A0000 00002411
	v_mfma_f32_16x16x16_bf16 v[64:67], a[108:109], a[4:5], v[64:67]// 000000008210: D3E10040 1D02096C
	v_mfma_f32_16x16x16_bf16 v[64:67], a[110:111], a[6:7], v[64:67]// 000000008218: D3E10040 1D020D6E
	v_mfma_f32_16x16x16_bf16 v[68:71], a[104:105], a[8:9], 0   // 000000008220: D3E10044 1A021168
	ds_read_b128 v[128:131], v18 offset:13568                  // 000000008228: D9FE3500 80000012
	ds_write_b32 v17, v37 offset:1056                          // 000000008230: D81A0420 00002511
	v_mfma_f32_16x16x16_bf16 v[68:71], a[106:107], a[10:11], v[68:71]// 000000008238: D3E10044 1D12156A
	v_mfma_f32_16x16x16_bf16 v[68:71], a[108:109], a[12:13], v[68:71]// 000000008240: D3E10044 1D12196C
	v_mfma_f32_16x16x16_bf16 v[68:71], a[110:111], a[14:15], v[68:71]// 000000008248: D3E10044 1D121D6E
	ds_read_b128 v[132:135], v18 offset:15232                  // 000000008250: D9FE3B80 84000012
	ds_write_b32 v17, v38 offset:2176                          // 000000008258: D81A0880 00002611
	v_mfma_f32_16x16x16_bf16 v[72:75], a[104:105], a[16:17], 0 // 000000008260: D3E10048 1A022168
	v_mfma_f32_16x16x16_bf16 v[72:75], a[106:107], a[18:19], v[72:75]// 000000008268: D3E10048 1D22256A
	v_mfma_f32_16x16x16_bf16 v[72:75], a[108:109], a[20:21], v[72:75]// 000000008270: D3E10048 1D22296C
	ds_read_b128 v[136:139], v18 offset:15744                  // 000000008278: D9FE3D80 88000012
	ds_write_b32 v17, v39 offset:3232                          // 000000008280: D81A0CA0 00002711
	v_mfma_f32_16x16x16_bf16 v[72:75], a[110:111], a[22:23], v[72:75]// 000000008288: D3E10048 1D222D6E
	s_cmp_lt_i32 s74, 12                                       // 000000008290: BF048C4A
	s_cbranch_scc0 label_120C                                  // 000000008294: BF8400E6
	s_mov_b32 s60, 0xffe0fffe                                  // 000000008298: BEBC00FF FFE0FFFE
	s_mov_b32 s61, 0xe000fe00                                  // 0000000082A0: BEBD00FF E000FE00
	s_nop 0                                                    // 0000000082A8: BF800000
	s_add_u32 s62, 0, s47                                      // 0000000082AC: 803E2F80
	s_cmp_lt_i32 s74, s62                                      // 0000000082B0: BF043E4A
	s_cbranch_scc1 label_1156                                  // 0000000082B4: BF850028
	s_cmp_eq_i32 s74, s62                                      // 0000000082B8: BF003E4A
	s_cbranch_scc1 label_113B                                  // 0000000082BC: BF85000B
	s_add_u32 s62, 4, s47                                      // 0000000082C0: 803E2F84
	s_cmp_lt_i32 s74, s62                                      // 0000000082C4: BF043E4A
	s_cbranch_scc1 label_1176                                  // 0000000082C8: BF850043
	s_cmp_eq_i32 s74, s62                                      // 0000000082CC: BF003E4A
	s_cbranch_scc1 label_115B                                  // 0000000082D0: BF850026
	s_add_u32 s62, 8, s47                                      // 0000000082D4: 803E2F88
	s_cmp_lt_i32 s74, s62                                      // 0000000082D8: BF043E4A
	s_cbranch_scc1 label_1196                                  // 0000000082DC: BF85005E
	s_cmp_eq_i32 s74, s62                                      // 0000000082E0: BF003E4A
	s_cbranch_scc1 label_117B                                  // 0000000082E4: BF850041
	s_branch label_119B                                        // 0000000082E8: BF820060

00000000000082ec <label_113B>:
	v_cndmask_b32_e64 v52, v52, v178, s[60:61]                 // 0000000082EC: D1000034 00F36534
	s_lshl_b32 s60, s60, 1                                     // 0000000082F4: 8E3C813C
	s_lshl_b32 s61, s61, 1                                     // 0000000082F8: 8E3D813D
	s_and_b32 s60, 0xfffeffff, s60                             // 0000000082FC: 863C3CFF FFFEFFFF
	s_and_b32 s61, 0xfffeffff, s61                             // 000000008304: 863D3DFF FFFEFFFF
	v_cndmask_b32_e64 v53, v53, v178, s[60:61]                 // 00000000830C: D1000035 00F36535
	s_lshl_b32 s60, s60, 1                                     // 000000008314: 8E3C813C
	s_lshl_b32 s61, s61, 1                                     // 000000008318: 8E3D813D
	s_and_b32 s60, 0xfffeffff, s60                             // 00000000831C: 863C3CFF FFFEFFFF
	s_and_b32 s61, 0xfffeffff, s61                             // 000000008324: 863D3DFF FFFEFFFF
	v_cndmask_b32_e64 v54, v54, v178, s[60:61]                 // 00000000832C: D1000036 00F36536
	s_lshl_b32 s60, s60, 1                                     // 000000008334: 8E3C813C
	s_lshl_b32 s61, s61, 1                                     // 000000008338: 8E3D813D
	s_and_b32 s60, 0xfffeffff, s60                             // 00000000833C: 863C3CFF FFFEFFFF
	s_and_b32 s61, 0xfffeffff, s61                             // 000000008344: 863D3DFF FFFEFFFF
	v_cndmask_b32_e64 v55, v55, v178, s[60:61]                 // 00000000834C: D1000037 00F36537
	s_branch label_1176                                        // 000000008354: BF820020

0000000000008358 <label_1156>:
	v_mov_b32_e32 v52, v178                                    // 000000008358: 7E6803B2
	v_mov_b32_e32 v53, v178                                    // 00000000835C: 7E6A03B2
	v_mov_b32_e32 v54, v178                                    // 000000008360: 7E6C03B2
	v_mov_b32_e32 v55, v178                                    // 000000008364: 7E6E03B2
	s_branch label_1176                                        // 000000008368: BF82001B

000000000000836c <label_115B>:
	v_cndmask_b32_e64 v56, v56, v178, s[60:61]                 // 00000000836C: D1000038 00F36538
	s_lshl_b32 s60, s60, 1                                     // 000000008374: 8E3C813C
	s_lshl_b32 s61, s61, 1                                     // 000000008378: 8E3D813D
	s_and_b32 s60, 0xfffeffff, s60                             // 00000000837C: 863C3CFF FFFEFFFF
	s_and_b32 s61, 0xfffeffff, s61                             // 000000008384: 863D3DFF FFFEFFFF
	v_cndmask_b32_e64 v57, v57, v178, s[60:61]                 // 00000000838C: D1000039 00F36539
	s_lshl_b32 s60, s60, 1                                     // 000000008394: 8E3C813C
	s_lshl_b32 s61, s61, 1                                     // 000000008398: 8E3D813D
	s_and_b32 s60, 0xfffeffff, s60                             // 00000000839C: 863C3CFF FFFEFFFF
	s_and_b32 s61, 0xfffeffff, s61                             // 0000000083A4: 863D3DFF FFFEFFFF
	v_cndmask_b32_e64 v58, v58, v178, s[60:61]                 // 0000000083AC: D100003A 00F3653A
	s_lshl_b32 s60, s60, 1                                     // 0000000083B4: 8E3C813C
	s_lshl_b32 s61, s61, 1                                     // 0000000083B8: 8E3D813D
	s_and_b32 s60, 0xfffeffff, s60                             // 0000000083BC: 863C3CFF FFFEFFFF
	s_and_b32 s61, 0xfffeffff, s61                             // 0000000083C4: 863D3DFF FFFEFFFF
	v_cndmask_b32_e64 v59, v59, v178, s[60:61]                 // 0000000083CC: D100003B 00F3653B
	s_branch label_1196                                        // 0000000083D4: BF820020

00000000000083d8 <label_1176>:
	v_mov_b32_e32 v56, v178                                    // 0000000083D8: 7E7003B2
	v_mov_b32_e32 v57, v178                                    // 0000000083DC: 7E7203B2
	v_mov_b32_e32 v58, v178                                    // 0000000083E0: 7E7403B2
	v_mov_b32_e32 v59, v178                                    // 0000000083E4: 7E7603B2
	s_branch label_1196                                        // 0000000083E8: BF82001B

00000000000083ec <label_117B>:
	v_cndmask_b32_e64 v60, v60, v178, s[60:61]                 // 0000000083EC: D100003C 00F3653C
	s_lshl_b32 s60, s60, 1                                     // 0000000083F4: 8E3C813C
	s_lshl_b32 s61, s61, 1                                     // 0000000083F8: 8E3D813D
	s_and_b32 s60, 0xfffeffff, s60                             // 0000000083FC: 863C3CFF FFFEFFFF
	s_and_b32 s61, 0xfffeffff, s61                             // 000000008404: 863D3DFF FFFEFFFF
	v_cndmask_b32_e64 v61, v61, v178, s[60:61]                 // 00000000840C: D100003D 00F3653D
	s_lshl_b32 s60, s60, 1                                     // 000000008414: 8E3C813C
	s_lshl_b32 s61, s61, 1                                     // 000000008418: 8E3D813D
	s_and_b32 s60, 0xfffeffff, s60                             // 00000000841C: 863C3CFF FFFEFFFF
	s_and_b32 s61, 0xfffeffff, s61                             // 000000008424: 863D3DFF FFFEFFFF
	v_cndmask_b32_e64 v62, v62, v178, s[60:61]                 // 00000000842C: D100003E 00F3653E
	s_lshl_b32 s60, s60, 1                                     // 000000008434: 8E3C813C
	s_lshl_b32 s61, s61, 1                                     // 000000008438: 8E3D813D
	s_and_b32 s60, 0xfffeffff, s60                             // 00000000843C: 863C3CFF FFFEFFFF
	s_and_b32 s61, 0xfffeffff, s61                             // 000000008444: 863D3DFF FFFEFFFF
	v_cndmask_b32_e64 v63, v63, v178, s[60:61]                 // 00000000844C: D100003F 00F3653F
	s_branch label_119B                                        // 000000008454: BF820005

0000000000008458 <label_1196>:
	v_mov_b32_e32 v60, v178                                    // 000000008458: 7E7803B2
	v_mov_b32_e32 v61, v178                                    // 00000000845C: 7E7A03B2
	v_mov_b32_e32 v62, v178                                    // 000000008460: 7E7C03B2
	v_mov_b32_e32 v63, v178                                    // 000000008464: 7E7E03B2
	s_branch label_119B                                        // 000000008468: BF820000

000000000000846c <label_119B>:
	s_addk_i32 s74, 0x1                                        // 00000000846C: B74A0001
	s_add_u32 s62, 0, s47                                      // 000000008470: 803E2F80
	s_cmp_lt_i32 s74, s62                                      // 000000008474: BF043E4A
	s_cbranch_scc1 label_11C7                                  // 000000008478: BF850028
	s_cmp_eq_i32 s74, s62                                      // 00000000847C: BF003E4A
	s_cbranch_scc1 label_11AC                                  // 000000008480: BF85000B
	s_add_u32 s62, 4, s47                                      // 000000008484: 803E2F84
	s_cmp_lt_i32 s74, s62                                      // 000000008488: BF043E4A
	s_cbranch_scc1 label_11E7                                  // 00000000848C: BF850043
	s_cmp_eq_i32 s74, s62                                      // 000000008490: BF003E4A
	s_cbranch_scc1 label_11CC                                  // 000000008494: BF850026
	s_add_u32 s62, 8, s47                                      // 000000008498: 803E2F88
	s_cmp_lt_i32 s74, s62                                      // 00000000849C: BF043E4A
	s_cbranch_scc1 label_1207                                  // 0000000084A0: BF85005E
	s_cmp_eq_i32 s74, s62                                      // 0000000084A4: BF003E4A
	s_cbranch_scc1 label_11EC                                  // 0000000084A8: BF850041
	s_branch label_120C                                        // 0000000084AC: BF820060

00000000000084b0 <label_11AC>:
	v_cndmask_b32_e64 v64, v64, v178, s[60:61]                 // 0000000084B0: D1000040 00F36540
	s_lshl_b32 s60, s60, 1                                     // 0000000084B8: 8E3C813C
	s_lshl_b32 s61, s61, 1                                     // 0000000084BC: 8E3D813D
	s_and_b32 s60, 0xfffeffff, s60                             // 0000000084C0: 863C3CFF FFFEFFFF
	s_and_b32 s61, 0xfffeffff, s61                             // 0000000084C8: 863D3DFF FFFEFFFF
	v_cndmask_b32_e64 v65, v65, v178, s[60:61]                 // 0000000084D0: D1000041 00F36541
	s_lshl_b32 s60, s60, 1                                     // 0000000084D8: 8E3C813C
	s_lshl_b32 s61, s61, 1                                     // 0000000084DC: 8E3D813D
	s_and_b32 s60, 0xfffeffff, s60                             // 0000000084E0: 863C3CFF FFFEFFFF
	s_and_b32 s61, 0xfffeffff, s61                             // 0000000084E8: 863D3DFF FFFEFFFF
	v_cndmask_b32_e64 v66, v66, v178, s[60:61]                 // 0000000084F0: D1000042 00F36542
	s_lshl_b32 s60, s60, 1                                     // 0000000084F8: 8E3C813C
	s_lshl_b32 s61, s61, 1                                     // 0000000084FC: 8E3D813D
	s_and_b32 s60, 0xfffeffff, s60                             // 000000008500: 863C3CFF FFFEFFFF
	s_and_b32 s61, 0xfffeffff, s61                             // 000000008508: 863D3DFF FFFEFFFF
	v_cndmask_b32_e64 v67, v67, v178, s[60:61]                 // 000000008510: D1000043 00F36543
	s_branch label_11E7                                        // 000000008518: BF820020

000000000000851c <label_11C7>:
	v_mov_b32_e32 v64, v178                                    // 00000000851C: 7E8003B2
	v_mov_b32_e32 v65, v178                                    // 000000008520: 7E8203B2
	v_mov_b32_e32 v66, v178                                    // 000000008524: 7E8403B2
	v_mov_b32_e32 v67, v178                                    // 000000008528: 7E8603B2
	s_branch label_11E7                                        // 00000000852C: BF82001B

0000000000008530 <label_11CC>:
	v_cndmask_b32_e64 v68, v68, v178, s[60:61]                 // 000000008530: D1000044 00F36544
	s_lshl_b32 s60, s60, 1                                     // 000000008538: 8E3C813C
	s_lshl_b32 s61, s61, 1                                     // 00000000853C: 8E3D813D
	s_and_b32 s60, 0xfffeffff, s60                             // 000000008540: 863C3CFF FFFEFFFF
	s_and_b32 s61, 0xfffeffff, s61                             // 000000008548: 863D3DFF FFFEFFFF
	v_cndmask_b32_e64 v69, v69, v178, s[60:61]                 // 000000008550: D1000045 00F36545
	s_lshl_b32 s60, s60, 1                                     // 000000008558: 8E3C813C
	s_lshl_b32 s61, s61, 1                                     // 00000000855C: 8E3D813D
	s_and_b32 s60, 0xfffeffff, s60                             // 000000008560: 863C3CFF FFFEFFFF
	s_and_b32 s61, 0xfffeffff, s61                             // 000000008568: 863D3DFF FFFEFFFF
	v_cndmask_b32_e64 v70, v70, v178, s[60:61]                 // 000000008570: D1000046 00F36546
	s_lshl_b32 s60, s60, 1                                     // 000000008578: 8E3C813C
	s_lshl_b32 s61, s61, 1                                     // 00000000857C: 8E3D813D
	s_and_b32 s60, 0xfffeffff, s60                             // 000000008580: 863C3CFF FFFEFFFF
	s_and_b32 s61, 0xfffeffff, s61                             // 000000008588: 863D3DFF FFFEFFFF
	v_cndmask_b32_e64 v71, v71, v178, s[60:61]                 // 000000008590: D1000047 00F36547
	s_branch label_1207                                        // 000000008598: BF820020

000000000000859c <label_11E7>:
	v_mov_b32_e32 v68, v178                                    // 00000000859C: 7E8803B2
	v_mov_b32_e32 v69, v178                                    // 0000000085A0: 7E8A03B2
	v_mov_b32_e32 v70, v178                                    // 0000000085A4: 7E8C03B2
	v_mov_b32_e32 v71, v178                                    // 0000000085A8: 7E8E03B2
	s_branch label_1207                                        // 0000000085AC: BF82001B

00000000000085b0 <label_11EC>:
	v_cndmask_b32_e64 v72, v72, v178, s[60:61]                 // 0000000085B0: D1000048 00F36548
	s_lshl_b32 s60, s60, 1                                     // 0000000085B8: 8E3C813C
	s_lshl_b32 s61, s61, 1                                     // 0000000085BC: 8E3D813D
	s_and_b32 s60, 0xfffeffff, s60                             // 0000000085C0: 863C3CFF FFFEFFFF
	s_and_b32 s61, 0xfffeffff, s61                             // 0000000085C8: 863D3DFF FFFEFFFF
	v_cndmask_b32_e64 v73, v73, v178, s[60:61]                 // 0000000085D0: D1000049 00F36549
	s_lshl_b32 s60, s60, 1                                     // 0000000085D8: 8E3C813C
	s_lshl_b32 s61, s61, 1                                     // 0000000085DC: 8E3D813D
	s_and_b32 s60, 0xfffeffff, s60                             // 0000000085E0: 863C3CFF FFFEFFFF
	s_and_b32 s61, 0xfffeffff, s61                             // 0000000085E8: 863D3DFF FFFEFFFF
	v_cndmask_b32_e64 v74, v74, v178, s[60:61]                 // 0000000085F0: D100004A 00F3654A
	s_lshl_b32 s60, s60, 1                                     // 0000000085F8: 8E3C813C
	s_lshl_b32 s61, s61, 1                                     // 0000000085FC: 8E3D813D
	s_and_b32 s60, 0xfffeffff, s60                             // 000000008600: 863C3CFF FFFEFFFF
	s_and_b32 s61, 0xfffeffff, s61                             // 000000008608: 863D3DFF FFFEFFFF
	v_cndmask_b32_e64 v75, v75, v178, s[60:61]                 // 000000008610: D100004B 00F3654B
	s_branch label_120C                                        // 000000008618: BF820005

000000000000861c <label_1207>:
	v_mov_b32_e32 v72, v178                                    // 00000000861C: 7E9003B2
	v_mov_b32_e32 v73, v178                                    // 000000008620: 7E9203B2
	v_mov_b32_e32 v74, v178                                    // 000000008624: 7E9403B2
	v_mov_b32_e32 v75, v178                                    // 000000008628: 7E9603B2
	s_branch label_120C                                        // 00000000862C: BF820000

0000000000008630 <label_120C>:
	s_addk_i32 s74, 0x1                                        // 000000008630: B74A0001
	s_waitcnt lgkmcnt(8)                                       // 000000008634: BF8CC87F
	s_barrier                                                  // 000000008638: BF8A0000
	v_mfma_f32_16x16x16_bf16 v[76:79], v[108:109], a[72:73], 0 // 00000000863C: D3E1004C 1202916C
	v_fma_f32 v52, v52, s57, -v140                             // 000000008644: D1CB0034 86307334
	v_fma_f32 v53, v53, s57, -v141                             // 00000000864C: D1CB0035 86347335
	v_fma_f32 v54, v54, s57, -v142                             // 000000008654: D1CB0036 86387336
	v_fma_f32 v55, v55, s57, -v143                             // 00000000865C: D1CB0037 863C7337
	v_fma_f32 v56, v56, s57, -v140                             // 000000008664: D1CB0038 86307338
	v_fma_f32 v57, v57, s57, -v141                             // 00000000866C: D1CB0039 86347339
	v_mfma_f32_16x16x16_bf16 v[76:79], v[110:111], a[74:75], v[76:79]// 000000008674: D3E1004C 1532956E
	ds_read_b128 a[96:99], v18 offset:4352                     // 00000000867C: DBFE1100 60000012
	ds_read_b128 a[100:103], v18 offset:4864                   // 000000008684: DBFE1300 64000012
	v_mfma_f32_16x16x16_bf16 v[76:79], v[112:113], a[76:77], v[76:79]// 00000000868C: D3E1004C 15329970
	v_fma_f32 v58, v58, s57, -v142                             // 000000008694: D1CB003A 8638733A
	v_fma_f32 v59, v59, s57, -v143                             // 00000000869C: D1CB003B 863C733B
	v_fma_f32 v60, v60, s57, -v140                             // 0000000086A4: D1CB003C 8630733C
	v_fma_f32 v61, v61, s57, -v141                             // 0000000086AC: D1CB003D 8634733D
	v_fma_f32 v62, v62, s57, -v142                             // 0000000086B4: D1CB003E 8638733E
	v_fma_f32 v63, v63, s57, -v143                             // 0000000086BC: D1CB003F 863C733F
	v_mfma_f32_16x16x16_bf16 v[76:79], v[114:115], a[78:79], v[76:79]// 0000000086C4: D3E1004C 15329D72
	v_fma_f32 v64, v64, s57, -v144                             // 0000000086CC: D1CB0040 86407340
	v_fma_f32 v65, v65, s57, -v145                             // 0000000086D4: D1CB0041 86447341
	v_fma_f32 v66, v66, s57, -v146                             // 0000000086DC: D1CB0042 86487342
	v_fma_f32 v67, v67, s57, -v147                             // 0000000086E4: D1CB0043 864C7343
	v_fma_f32 v68, v68, s57, -v144                             // 0000000086EC: D1CB0044 86407344
	v_fma_f32 v69, v69, s57, -v145                             // 0000000086F4: D1CB0045 86447345
	v_mfma_f32_16x16x16_bf16 v[80:83], v[108:109], a[80:81], 0 // 0000000086FC: D3E10050 1202A16C
	v_fma_f32 v70, v70, s57, -v146                             // 000000008704: D1CB0046 86487346
	v_fma_f32 v71, v71, s57, -v147                             // 00000000870C: D1CB0047 864C7347
	v_fma_f32 v72, v72, s57, -v144                             // 000000008714: D1CB0048 86407348
	v_fma_f32 v73, v73, s57, -v145                             // 00000000871C: D1CB0049 86447349
	v_fma_f32 v74, v74, s57, -v146                             // 000000008724: D1CB004A 8648734A
	v_fma_f32 v75, v75, s57, -v147                             // 00000000872C: D1CB004B 864C734B
	v_mfma_f32_16x16x16_bf16 v[80:83], v[110:111], a[82:83], v[80:83]// 000000008734: D3E10050 1542A56E
	ds_read_b128 a[104:107], v18 offset:6528                   // 00000000873C: DBFE1980 68000012
	ds_read_b128 a[108:111], v18 offset:7040                   // 000000008744: DBFE1B80 6C000012
	v_mfma_f32_16x16x16_bf16 v[80:83], v[112:113], a[84:85], v[80:83]// 00000000874C: D3E10050 1542A970
	v_exp_f32_e32 v52, v52                                     // 000000008754: 7E684134
	v_exp_f32_e32 v53, v53                                     // 000000008758: 7E6A4135
	v_mfma_f32_16x16x16_bf16 v[80:83], v[114:115], a[86:87], v[80:83]// 00000000875C: D3E10050 1542AD72
	v_exp_f32_e32 v54, v54                                     // 000000008764: 7E6C4136
	v_exp_f32_e32 v55, v55                                     // 000000008768: 7E6E4137
	v_mfma_f32_16x16x16_bf16 v[84:87], v[108:109], a[88:89], 0 // 00000000876C: D3E10054 1202B16C
	v_exp_f32_e32 v56, v56                                     // 000000008774: 7E704138
	v_exp_f32_e32 v57, v57                                     // 000000008778: 7E724139
	v_mfma_f32_16x16x16_bf16 v[84:87], v[110:111], a[90:91], v[84:87]// 00000000877C: D3E10054 1552B56E
	ds_read_b32 v156, v25 offset:31232                         // 000000008784: D86C7A00 9C000019
	ds_read_b32 v157, v25 offset:31248                         // 00000000878C: D86C7A10 9D000019
	v_mfma_f32_16x16x16_bf16 v[84:87], v[112:113], a[92:93], v[84:87]// 000000008794: D3E10054 1552B970
	v_exp_f32_e32 v58, v58                                     // 00000000879C: 7E74413A
	v_exp_f32_e32 v59, v59                                     // 0000000087A0: 7E76413B
	v_mfma_f32_16x16x16_bf16 v[84:87], v[114:115], a[94:95], v[84:87]// 0000000087A4: D3E10054 1552BD72
	ds_read_b32 v158, v25 offset:31264                         // 0000000087AC: D86C7A20 9E000019
	ds_read_b32 v159, v25 offset:31280                         // 0000000087B4: D86C7A30 9F000019
	v_mfma_f32_16x16x16_bf16 v[88:91], v[116:117], a[72:73], 0 // 0000000087BC: D3E10058 12029174
	v_exp_f32_e32 v60, v60                                     // 0000000087C4: 7E78413C
	v_exp_f32_e32 v61, v61                                     // 0000000087C8: 7E7A413D
	v_mfma_f32_16x16x16_bf16 v[88:91], v[118:119], a[74:75], v[88:91]// 0000000087CC: D3E10058 15629576
	v_exp_f32_e32 v62, v62                                     // 0000000087D4: 7E7C413E
	v_exp_f32_e32 v63, v63                                     // 0000000087D8: 7E7E413F
	v_mfma_f32_16x16x16_bf16 v[88:91], v[120:121], a[76:77], v[88:91]// 0000000087DC: D3E10058 15629978
	v_exp_f32_e32 v64, v64                                     // 0000000087E4: 7E804140
	v_exp_f32_e32 v65, v65                                     // 0000000087E8: 7E824141
	v_mfma_f32_16x16x16_bf16 v[88:91], v[122:123], a[78:79], v[88:91]// 0000000087EC: D3E10058 15629D7A
	v_exp_f32_e32 v66, v66                                     // 0000000087F4: 7E844142
	v_exp_f32_e32 v67, v67                                     // 0000000087F8: 7E864143
	v_mfma_f32_16x16x16_bf16 v[92:95], v[116:117], a[80:81], 0 // 0000000087FC: D3E1005C 1202A174
	v_exp_f32_e32 v68, v68                                     // 000000008804: 7E884144
	v_exp_f32_e32 v69, v69                                     // 000000008808: 7E8A4145
	v_mfma_f32_16x16x16_bf16 v[92:95], v[118:119], a[82:83], v[92:95]// 00000000880C: D3E1005C 1572A576
	v_exp_f32_e32 v70, v70                                     // 000000008814: 7E8C4146
	v_exp_f32_e32 v71, v71                                     // 000000008818: 7E8E4147
	v_mfma_f32_16x16x16_bf16 v[92:95], v[120:121], a[84:85], v[92:95]// 00000000881C: D3E1005C 1572A978
	v_exp_f32_e32 v72, v72                                     // 000000008824: 7E904148
	v_exp_f32_e32 v73, v73                                     // 000000008828: 7E924149
	v_mfma_f32_16x16x16_bf16 v[92:95], v[122:123], a[86:87], v[92:95]// 00000000882C: D3E1005C 1572AD7A
	v_exp_f32_e32 v74, v74                                     // 000000008834: 7E94414A
	v_exp_f32_e32 v75, v75                                     // 000000008838: 7E96414B
	v_mfma_f32_16x16x16_bf16 v[96:99], v[116:117], a[88:89], 0 // 00000000883C: D3E10060 1202B174
	v_perm_b32 v164, v53, v52, s64                             // 000000008844: D1ED00A4 01026935
	v_perm_b32 v165, v55, v54, s64                             // 00000000884C: D1ED00A5 01026D37
	v_perm_b32 v166, v57, v56, s64                             // 000000008854: D1ED00A6 01027139
	v_perm_b32 v167, v59, v58, s64                             // 00000000885C: D1ED00A7 0102753B
	v_perm_b32 v168, v61, v60, s64                             // 000000008864: D1ED00A8 0102793D
	v_perm_b32 v169, v63, v62, s64                             // 00000000886C: D1ED00A9 01027D3F
	v_mfma_f32_16x16x16_bf16 v[96:99], v[118:119], a[90:91], v[96:99]// 000000008874: D3E10060 1582B576
	v_perm_b32 v170, v65, v64, s64                             // 00000000887C: D1ED00AA 01028141
	v_perm_b32 v171, v67, v66, s64                             // 000000008884: D1ED00AB 01028543
	v_perm_b32 v172, v69, v68, s64                             // 00000000888C: D1ED00AC 01028945
	v_perm_b32 v173, v71, v70, s64                             // 000000008894: D1ED00AD 01028D47
	v_perm_b32 v174, v73, v72, s64                             // 00000000889C: D1ED00AE 01029149
	v_perm_b32 v175, v75, v74, s64                             // 0000000088A4: D1ED00AF 0102954B
	v_mfma_f32_16x16x16_bf16 v[96:99], v[120:121], a[92:93], v[96:99]// 0000000088AC: D3E10060 1582B978
	s_add_u32 s32, s66, s32                                    // 0000000088B4: 80202042
	s_addc_u32 s33, 0, s33                                     // 0000000088B8: 82212180
	v_mfma_f32_16x16x16_bf16 v[96:99], v[122:123], a[94:95], v[96:99]// 0000000088BC: D3E10060 1582BD7A
	s_waitcnt lgkmcnt(0)                                       // 0000000088C4: BF8CC07F
	s_barrier                                                  // 0000000088C8: BF8A0000
	v_mfma_f32_16x16x16_bf16 v[180:183], v[124:125], v[164:165], v[180:183]// 0000000088CC: D3E100B4 06D3497C
	v_subrev_f32_dpp v76, v176, v76 quad_perm:[0,0,0,0] row_mask:0xf bank_mask:0xf// 0000000088D4: 069898FA FF0000B0
	v_subrev_f32_dpp v77, v176, v77 quad_perm:[1,1,1,1] row_mask:0xf bank_mask:0xf// 0000000088DC: 069A9AFA FF0055B0
	v_subrev_f32_dpp v78, v176, v78 quad_perm:[2,2,2,2] row_mask:0xf bank_mask:0xf// 0000000088E4: 069C9CFA FF00AAB0
	v_subrev_f32_dpp v79, v176, v79 quad_perm:[3,3,3,3] row_mask:0xf bank_mask:0xf// 0000000088EC: 069E9EFA FF00FFB0
	v_subrev_f32_dpp v80, v176, v80 quad_perm:[0,0,0,0] row_mask:0xf bank_mask:0xf// 0000000088F4: 06A0A0FA FF0000B0
	v_subrev_f32_dpp v81, v176, v81 quad_perm:[1,1,1,1] row_mask:0xf bank_mask:0xf// 0000000088FC: 06A2A2FA FF0055B0
	v_mfma_f32_16x16x16_bf16 v[184:187], v[126:127], v[164:165], v[184:187]// 000000008904: D3E100B8 06E3497E
	v_subrev_f32_dpp v82, v176, v82 quad_perm:[2,2,2,2] row_mask:0xf bank_mask:0xf// 00000000890C: 06A4A4FA FF00AAB0
	v_subrev_f32_dpp v83, v176, v83 quad_perm:[3,3,3,3] row_mask:0xf bank_mask:0xf// 000000008914: 06A6A6FA FF00FFB0
	v_subrev_f32_dpp v84, v176, v84 quad_perm:[0,0,0,0] row_mask:0xf bank_mask:0xf// 00000000891C: 06A8A8FA FF0000B0
	v_subrev_f32_dpp v85, v176, v85 quad_perm:[1,1,1,1] row_mask:0xf bank_mask:0xf// 000000008924: 06AAAAFA FF0055B0
	v_subrev_f32_dpp v86, v176, v86 quad_perm:[2,2,2,2] row_mask:0xf bank_mask:0xf// 00000000892C: 06ACACFA FF00AAB0
	v_subrev_f32_dpp v87, v176, v87 quad_perm:[3,3,3,3] row_mask:0xf bank_mask:0xf// 000000008934: 06AEAEFA FF00FFB0
	v_mfma_f32_16x16x16_bf16 v[188:191], v[128:129], v[164:165], v[188:191]// 00000000893C: D3E100BC 06F34980
	v_mul_f32_e32 v76, v52, v76                                // 000000008944: 0A989934
	v_mul_f32_e32 v77, v53, v77                                // 000000008948: 0A9A9B35
	v_mul_f32_e32 v78, v54, v78                                // 00000000894C: 0A9C9D36
	v_mul_f32_e32 v79, v55, v79                                // 000000008950: 0A9E9F37
	v_mul_f32_e32 v80, v56, v80                                // 000000008954: 0AA0A138
	v_mul_f32_e32 v81, v57, v81                                // 000000008958: 0AA2A339
	v_mfma_f32_16x16x16_bf16 v[192:195], v[130:131], v[164:165], v[192:195]// 00000000895C: D3E100C0 07034982
	v_mul_f32_e32 v82, v58, v82                                // 000000008964: 0AA4A53A
	v_mul_f32_e32 v83, v59, v83                                // 000000008968: 0AA6A73B
	v_mul_f32_e32 v84, v60, v84                                // 00000000896C: 0AA8A93C
	v_mul_f32_e32 v85, v61, v85                                // 000000008970: 0AAAAB3D
	v_mul_f32_e32 v86, v62, v86                                // 000000008974: 0AACAD3E
	v_mul_f32_e32 v87, v63, v87                                // 000000008978: 0AAEAF3F
	v_mfma_f32_16x16x16_bf16 v[196:199], v[124:125], v[166:167], v[196:199]// 00000000897C: D3E100C4 07134D7C
	v_perm_b32 v76, v77, v76, s64                              // 000000008984: D1ED004C 0102994D
	v_perm_b32 v77, v79, v78, s64                              // 00000000898C: D1ED004D 01029D4F
	v_perm_b32 v78, v81, v80, s64                              // 000000008994: D1ED004E 0102A151
	v_perm_b32 v79, v83, v82, s64                              // 00000000899C: D1ED004F 0102A553
	v_perm_b32 v80, v85, v84, s64                              // 0000000089A4: D1ED0050 0102A955
	v_perm_b32 v81, v87, v86, s64                              // 0000000089AC: D1ED0051 0102AD57
	v_mfma_f32_16x16x16_bf16 v[200:203], v[126:127], v[166:167], v[200:203]// 0000000089B4: D3E100C8 07234D7E
	v_mov_b32_dpp v22, v76 quad_perm:[1,0,3,2] row_mask:0xf bank_mask:0xf// 0000000089BC: 7E2C02FA FF00B14C
	v_perm_b32 v52, v22, v76, v21                              // 0000000089C4: D1ED0034 04569916
	v_mov_b32_dpp v22, v77 quad_perm:[1,0,3,2] row_mask:0xf bank_mask:0xf// 0000000089CC: 7E2C02FA FF00B14D
	v_perm_b32 v53, v22, v77, v21                              // 0000000089D4: D1ED0035 04569B16
	v_mov_b32_dpp v22, v78 quad_perm:[1,0,3,2] row_mask:0xf bank_mask:0xf// 0000000089DC: 7E2C02FA FF00B14E
	v_perm_b32 v54, v22, v78, v21                              // 0000000089E4: D1ED0036 04569D16
	v_mfma_f32_16x16x16_bf16 v[204:207], v[128:129], v[166:167], v[204:207]// 0000000089EC: D3E100CC 07334D80
	ds_write_b32 v24, v52 offset:17408                         // 0000000089F4: D81A4400 00003418
	ds_write_b32 v24, v53 offset:17952                         // 0000000089FC: D81A4620 00003518
	v_mfma_f32_16x16x16_bf16 v[208:211], v[130:131], v[166:167], v[208:211]// 000000008A04: D3E100D0 07434D82
	v_mov_b32_dpp v22, v79 quad_perm:[1,0,3,2] row_mask:0xf bank_mask:0xf// 000000008A0C: 7E2C02FA FF00B14F
	v_perm_b32 v55, v22, v79, v21                              // 000000008A14: D1ED0037 04569F16
	v_mov_b32_dpp v22, v80 quad_perm:[1,0,3,2] row_mask:0xf bank_mask:0xf// 000000008A1C: 7E2C02FA FF00B150
	v_perm_b32 v56, v22, v80, v21                              // 000000008A24: D1ED0038 0456A116
	v_mov_b32_dpp v22, v81 quad_perm:[1,0,3,2] row_mask:0xf bank_mask:0xf// 000000008A2C: 7E2C02FA FF00B151
	v_perm_b32 v57, v22, v81, v21                              // 000000008A34: D1ED0039 0456A316
	v_mfma_f32_16x16x16_bf16 v[212:215], v[124:125], v[168:169], v[212:215]// 000000008A3C: D3E100D4 0753517C
	ds_write_b32 v24, v54 offset:19712                         // 000000008A44: D81A4D00 00003618
	ds_write_b32 v24, v55 offset:20256                         // 000000008A4C: D81A4F20 00003718
	v_mfma_f32_16x16x16_bf16 v[216:219], v[126:127], v[168:169], v[216:219]// 000000008A54: D3E100D8 0763517E
	v_subrev_f32_dpp v88, v177, v88 quad_perm:[0,0,0,0] row_mask:0xf bank_mask:0xf// 000000008A5C: 06B0B0FA FF0000B1
	v_subrev_f32_dpp v89, v177, v89 quad_perm:[1,1,1,1] row_mask:0xf bank_mask:0xf// 000000008A64: 06B2B2FA FF0055B1
	v_subrev_f32_dpp v90, v177, v90 quad_perm:[2,2,2,2] row_mask:0xf bank_mask:0xf// 000000008A6C: 06B4B4FA FF00AAB1
	v_subrev_f32_dpp v91, v177, v91 quad_perm:[3,3,3,3] row_mask:0xf bank_mask:0xf// 000000008A74: 06B6B6FA FF00FFB1
	v_subrev_f32_dpp v92, v177, v92 quad_perm:[0,0,0,0] row_mask:0xf bank_mask:0xf// 000000008A7C: 06B8B8FA FF0000B1
	v_subrev_f32_dpp v93, v177, v93 quad_perm:[1,1,1,1] row_mask:0xf bank_mask:0xf// 000000008A84: 06BABAFA FF0055B1
	v_mfma_f32_16x16x16_bf16 v[220:223], v[128:129], v[168:169], v[220:223]// 000000008A8C: D3E100DC 07735180
	ds_write_b32 v24, v56 offset:22016                         // 000000008A94: D81A5600 00003818
	ds_write_b32 v24, v57 offset:22560                         // 000000008A9C: D81A5820 00003918
	v_mfma_f32_16x16x16_bf16 v[224:227], v[130:131], v[168:169], v[224:227]// 000000008AA4: D3E100E0 07835182
	v_subrev_f32_dpp v94, v177, v94 quad_perm:[2,2,2,2] row_mask:0xf bank_mask:0xf// 000000008AAC: 06BCBCFA FF00AAB1
	v_subrev_f32_dpp v95, v177, v95 quad_perm:[3,3,3,3] row_mask:0xf bank_mask:0xf// 000000008AB4: 06BEBEFA FF00FFB1
	v_subrev_f32_dpp v96, v177, v96 quad_perm:[0,0,0,0] row_mask:0xf bank_mask:0xf// 000000008ABC: 06C0C0FA FF0000B1
	v_subrev_f32_dpp v97, v177, v97 quad_perm:[1,1,1,1] row_mask:0xf bank_mask:0xf// 000000008AC4: 06C2C2FA FF0055B1
	v_subrev_f32_dpp v98, v177, v98 quad_perm:[2,2,2,2] row_mask:0xf bank_mask:0xf// 000000008ACC: 06C4C4FA FF00AAB1
	v_subrev_f32_dpp v99, v177, v99 quad_perm:[3,3,3,3] row_mask:0xf bank_mask:0xf// 000000008AD4: 06C6C6FA FF00FFB1
	v_mfma_f32_16x16x16_bf16 v[180:183], v[132:133], v[170:171], v[180:183]// 000000008ADC: D3E100B4 06D35584
	v_mul_f32_e32 v88, v64, v88                                // 000000008AE4: 0AB0B140
	v_mul_f32_e32 v89, v65, v89                                // 000000008AE8: 0AB2B341
	v_mul_f32_e32 v90, v66, v90                                // 000000008AEC: 0AB4B542
	v_mul_f32_e32 v91, v67, v91                                // 000000008AF0: 0AB6B743
	v_mul_f32_e32 v92, v68, v92                                // 000000008AF4: 0AB8B944
	v_mul_f32_e32 v93, v69, v93                                // 000000008AF8: 0ABABB45
	v_mfma_f32_16x16x16_bf16 v[184:187], v[134:135], v[170:171], v[184:187]// 000000008AFC: D3E100B8 06E35586
	v_mul_f32_e32 v94, v70, v94                                // 000000008B04: 0ABCBD46
	v_mul_f32_e32 v95, v71, v95                                // 000000008B08: 0ABEBF47
	v_mul_f32_e32 v96, v72, v96                                // 000000008B0C: 0AC0C148
	v_mul_f32_e32 v97, v73, v97                                // 000000008B10: 0AC2C349
	v_mul_f32_e32 v98, v74, v98                                // 000000008B14: 0AC4C54A
	v_mul_f32_e32 v99, v75, v99                                // 000000008B18: 0AC6C74B
	v_mfma_f32_16x16x16_bf16 v[188:191], v[136:137], v[170:171], v[188:191]// 000000008B1C: D3E100BC 06F35588
	v_perm_b32 v82, v89, v88, s64                              // 000000008B24: D1ED0052 0102B159
	v_perm_b32 v83, v91, v90, s64                              // 000000008B2C: D1ED0053 0102B55B
	v_perm_b32 v84, v93, v92, s64                              // 000000008B34: D1ED0054 0102B95D
	v_perm_b32 v85, v95, v94, s64                              // 000000008B3C: D1ED0055 0102BD5F
	v_perm_b32 v86, v97, v96, s64                              // 000000008B44: D1ED0056 0102C161
	v_perm_b32 v87, v99, v98, s64                              // 000000008B4C: D1ED0057 0102C563
	v_mfma_f32_16x16x16_bf16 v[192:195], v[138:139], v[170:171], v[192:195]// 000000008B54: D3E100C0 0703558A
	v_mov_b32_dpp v22, v82 quad_perm:[1,0,3,2] row_mask:0xf bank_mask:0xf// 000000008B5C: 7E2C02FA FF00B152
	v_perm_b32 v58, v22, v82, v21                              // 000000008B64: D1ED003A 0456A516
	v_mov_b32_dpp v22, v83 quad_perm:[1,0,3,2] row_mask:0xf bank_mask:0xf// 000000008B6C: 7E2C02FA FF00B153
	v_perm_b32 v59, v22, v83, v21                              // 000000008B74: D1ED003B 0456A716
	v_mov_b32_dpp v22, v84 quad_perm:[1,0,3,2] row_mask:0xf bank_mask:0xf// 000000008B7C: 7E2C02FA FF00B154
	v_perm_b32 v60, v22, v84, v21                              // 000000008B84: D1ED003C 0456A916
	v_mfma_f32_16x16x16_bf16 v[196:199], v[132:133], v[172:173], v[196:199]// 000000008B8C: D3E100C4 07135984
	ds_write_b32 v24, v58 offset:24320                         // 000000008B94: D81A5F00 00003A18
	ds_write_b32 v24, v59 offset:24864                         // 000000008B9C: D81A6120 00003B18
	v_mfma_f32_16x16x16_bf16 v[200:203], v[134:135], v[172:173], v[200:203]// 000000008BA4: D3E100C8 07235986
	v_mov_b32_dpp v22, v85 quad_perm:[1,0,3,2] row_mask:0xf bank_mask:0xf// 000000008BAC: 7E2C02FA FF00B155
	v_perm_b32 v61, v22, v85, v21                              // 000000008BB4: D1ED003D 0456AB16
	v_mov_b32_dpp v22, v86 quad_perm:[1,0,3,2] row_mask:0xf bank_mask:0xf// 000000008BBC: 7E2C02FA FF00B156
	v_perm_b32 v62, v22, v86, v21                              // 000000008BC4: D1ED003E 0456AD16
	v_mov_b32_dpp v22, v87 quad_perm:[1,0,3,2] row_mask:0xf bank_mask:0xf// 000000008BCC: 7E2C02FA FF00B157
	v_perm_b32 v63, v22, v87, v21                              // 000000008BD4: D1ED003F 0456AF16
	v_mfma_f32_16x16x16_bf16 v[204:207], v[136:137], v[172:173], v[204:207]// 000000008BDC: D3E100CC 07335988
	ds_write_b32 v24, v60 offset:26624                         // 000000008BE4: D81A6800 00003C18
	ds_write_b32 v24, v61 offset:27168                         // 000000008BEC: D81A6A20 00003D18
	ds_write_b32 v24, v62 offset:28928                         // 000000008BF4: D81A7100 00003E18
	ds_write_b32 v24, v63 offset:29472                         // 000000008BFC: D81A7320 00003F18
	v_mfma_f32_16x16x16_bf16 v[208:211], v[138:139], v[172:173], v[208:211]// 000000008C04: D3E100D0 0743598A
	v_mfma_f32_16x16x16_bf16 v[212:215], v[132:133], v[174:175], v[212:215]// 000000008C0C: D3E100D4 07535D84
	ds_write_b32 v19, v100 offset:4352                         // 000000008C14: D81A1100 00006413
	ds_write_b32 v19, v101 offset:5408                         // 000000008C1C: D81A1520 00006513
	v_mfma_f32_16x16x16_bf16 v[216:219], v[134:135], v[174:175], v[216:219]// 000000008C24: D3E100D8 07635D86
	v_mfma_f32_16x16x16_bf16 v[220:223], v[136:137], v[174:175], v[220:223]// 000000008C2C: D3E100DC 07735D88
	ds_write_b32 v19, v102 offset:6528                         // 000000008C34: D81A1980 00006613
	ds_write_b32 v19, v103 offset:7584                         // 000000008C3C: D81A1DA0 00006713
	v_mfma_f32_16x16x16_bf16 v[224:227], v[138:139], v[174:175], v[224:227]// 000000008C44: D3E100E0 07835D8A
	s_nop 0                                                    // 000000008C4C: BF800000
	s_nop 0                                                    // 000000008C50: BF800000
	s_nop 0                                                    // 000000008C54: BF800000
	s_barrier                                                  // 000000008C58: BF8A0000
	v_mfma_f32_16x16x16_bf16 a[112:115], a[96:97], v[76:77], a[112:115]// 000000008C5C: D3E18070 0DC29960
	ds_read_b32 v140, v27 offset:35584                         // 000000008C64: D86C8B00 8C00001B
	ds_read_b32 v144, v27 offset:35648                         // 000000008C6C: D86C8B40 9000001B
	ds_read_b32 v176, v27 offset:35840                         // 000000008C74: D86C8C00 B000001B
	ds_read_b32 v177, v27 offset:35904                         // 000000008C7C: D86C8C40 B100001B
	v_mfma_f32_16x16x16_bf16 a[116:119], a[98:99], v[76:77], a[116:119]// 000000008C84: D3E18074 0DD29962
	global_atomic_pk_add_bf16 v6, v156, s[32:33]               // 000000008C8C: DD488000 00209C06
	v_mfma_f32_16x16x16_bf16 a[120:123], a[100:101], v[76:77], a[120:123]// 000000008C94: D3E18078 0DE29964
	s_waitcnt lgkmcnt(8)                                       // 000000008C9C: BF8CC87F
	s_barrier                                                  // 000000008CA0: BF8A0000
	v_mfma_f32_16x16x16_bf16 a[124:127], a[102:103], v[76:77], a[124:127]// 000000008CA4: D3E1807C 0DF29966
	v_mfma_f32_16x16x16_bf16 a[128:131], a[96:97], v[78:79], a[128:131]// 000000008CAC: D3E18080 0E029D60
	ds_read_b128 v[52:55], v23 offset:17408                    // 000000008CB4: D9FE4400 34000017
	v_mfma_f32_16x16x16_bf16 a[132:135], a[98:99], v[78:79], a[132:135]// 000000008CBC: D3E18084 0E129D62
	v_mfma_f32_16x16x16_bf16 a[136:139], a[100:101], v[78:79], a[136:139]// 000000008CC4: D3E18088 0E229D64
	ds_read_b128 v[56:59], v23 offset:18560                    // 000000008CCC: D9FE4880 38000017
	v_mfma_f32_16x16x16_bf16 a[140:143], a[102:103], v[78:79], a[140:143]// 000000008CD4: D3E1808C 0E329D66
	global_atomic_pk_add_bf16 v8, v157, s[32:33]               // 000000008CDC: DD488000 00209D08
	v_mfma_f32_16x16x16_bf16 a[144:147], a[96:97], v[80:81], a[144:147]// 000000008CE4: D3E18090 0E42A160
	ds_read_b128 v[60:63], v23 offset:19712                    // 000000008CEC: D9FE4D00 3C000017
	v_mfma_f32_16x16x16_bf16 a[148:151], a[98:99], v[80:81], a[148:151]// 000000008CF4: D3E18094 0E52A162
	v_mfma_f32_16x16x16_bf16 a[152:155], a[100:101], v[80:81], a[152:155]// 000000008CFC: D3E18098 0E62A164
	ds_read_b128 v[64:67], v23 offset:20864                    // 000000008D04: D9FE5180 40000017
	v_mfma_f32_16x16x16_bf16 a[156:159], a[102:103], v[80:81], a[156:159]// 000000008D0C: D3E1809C 0E72A166
	v_mfma_f32_16x16x16_bf16 a[112:115], a[104:105], v[82:83], a[112:115]// 000000008D14: D3E18070 0DC2A568
	ds_read_b128 v[68:71], v23 offset:22016                    // 000000008D1C: D9FE5600 44000017
	v_mfma_f32_16x16x16_bf16 a[116:119], a[106:107], v[82:83], a[116:119]// 000000008D24: D3E18074 0DD2A56A
	global_atomic_pk_add_bf16 v10, v158, s[32:33]              // 000000008D2C: DD488000 00209E0A
	v_mfma_f32_16x16x16_bf16 a[120:123], a[108:109], v[82:83], a[120:123]// 000000008D34: D3E18078 0DE2A56C
	ds_read_b128 v[72:75], v23 offset:23168                    // 000000008D3C: D9FE5A80 48000017
	v_mfma_f32_16x16x16_bf16 a[124:127], a[110:111], v[82:83], a[124:127]// 000000008D44: D3E1807C 0DF2A56E
	v_mfma_f32_16x16x16_bf16 a[128:131], a[104:105], v[84:85], a[128:131]// 000000008D4C: D3E18080 0E02A968
	ds_write_b32 v19, v104 offset:13056                        // 000000008D54: D81A3300 00006813
	v_mfma_f32_16x16x16_bf16 a[132:135], a[106:107], v[84:85], a[132:135]// 000000008D5C: D3E18084 0E12A96A
	v_mfma_f32_16x16x16_bf16 a[136:139], a[108:109], v[84:85], a[136:139]// 000000008D64: D3E18088 0E22A96C
	ds_write_b32 v19, v105 offset:14112                        // 000000008D6C: D81A3720 00006913
	v_mfma_f32_16x16x16_bf16 a[140:143], a[110:111], v[84:85], a[140:143]// 000000008D74: D3E1808C 0E32A96E
	global_atomic_pk_add_bf16 v12, v159, s[32:33]              // 000000008D7C: DD488000 00209F0C
	v_mfma_f32_16x16x16_bf16 a[144:147], a[104:105], v[86:87], a[144:147]// 000000008D84: D3E18090 0E42AD68
	ds_write_b32 v19, v106 offset:15232                        // 000000008D8C: D81A3B80 00006A13
	v_mfma_f32_16x16x16_bf16 a[148:151], a[106:107], v[86:87], a[148:151]// 000000008D94: D3E18094 0E52AD6A
	v_mfma_f32_16x16x16_bf16 a[152:155], a[108:109], v[86:87], a[152:155]// 000000008D9C: D3E18098 0E62AD6C
	ds_write_b32 v19, v107 offset:16288                        // 000000008DA4: D81A3FA0 00006B13
	v_mfma_f32_16x16x16_bf16 a[156:159], a[110:111], v[86:87], a[156:159]// 000000008DAC: D3E1809C 0E72AD6E
	s_waitcnt vmcnt(4) lgkmcnt(4)                              // 000000008DB4: BF8C0474
	s_barrier                                                  // 000000008DB8: BF8A0000
	v_mfma_f32_16x16x16_bf16 v[148:151], a[24:25], v[52:53], 0 // 000000008DBC: D3E10094 0A026918
	ds_read_b128 a[96:99], v16                                 // 000000008DC4: DBFE0000 60000010
	buffer_load_dword v36, v1, s[8:11], 0 idxen                // 000000008DCC: E0502000 80022401
	v_mfma_f32_16x16x16_bf16 v[148:151], a[28:29], v[54:55], v[148:151]// 000000008DD4: D3E10094 0E526D1C
	v_mul_f32_e32 v140, s49, v140                              // 000000008DDC: 0B191831
	v_mul_f32_e32 v144, s49, v144                              // 000000008DE0: 0B212031
	s_nop 0                                                    // 000000008DE4: BF800000
	v_mfma_f32_16x16x16_bf16 v[148:151], a[32:33], v[56:57], v[148:151]// 000000008DE8: D3E10094 0E527120
	ds_read_b128 a[100:103], v16 offset:512                    // 000000008DF0: DBFE0200 64000010
	buffer_load_dword v37, v2, s[8:11], 0 idxen                // 000000008DF8: E0502000 80022502
	v_mfma_f32_16x16x16_bf16 v[148:151], a[36:37], v[58:59], v[148:151]// 000000008E00: D3E10094 0E527524
	v_mfma_f32_16x16x16_bf16 v[148:151], a[40:41], v[60:61], v[148:151]// 000000008E08: D3E10094 0E527928
	ds_read_b128 a[104:107], v16 offset:2176                   // 000000008E10: DBFE0880 68000010
	buffer_load_dword v38, v3, s[8:11], 0 idxen                // 000000008E18: E0502000 80022603
	v_mfma_f32_16x16x16_bf16 v[148:151], a[44:45], v[62:63], v[148:151]// 000000008E20: D3E10094 0E527D2C
	v_perm_b32 v100, v41, v40, s63                             // 000000008E28: D1ED0064 00FE5129
	v_perm_b32 v101, v41, v40, s64                             // 000000008E30: D1ED0065 01025129
	v_mfma_f32_16x16x16_bf16 v[148:151], a[48:49], v[64:65], v[148:151]// 000000008E38: D3E10094 0E528130
	ds_read_b128 a[108:111], v16 offset:2688                   // 000000008E40: DBFE0A80 6C000010
	buffer_load_dword v39, v4, s[8:11], 0 idxen                // 000000008E48: E0502000 80022704
	v_mfma_f32_16x16x16_bf16 v[148:151], a[52:53], v[66:67], v[148:151]// 000000008E50: D3E10094 0E528534
	v_perm_b32 v102, v43, v42, s63                             // 000000008E58: D1ED0066 00FE552B
	v_perm_b32 v103, v43, v42, s64                             // 000000008E60: D1ED0067 0102552B
	v_mfma_f32_16x16x16_bf16 v[148:151], a[56:57], v[68:69], v[148:151]// 000000008E68: D3E10094 0E528938
	ds_read_b128 v[108:111], v16 offset:8704                   // 000000008E70: D9FE2200 6C000010
	buffer_load_dword v44, v1, s[20:23], 0 idxen               // 000000008E78: E0502000 80052C01
	v_mfma_f32_16x16x16_bf16 v[148:151], a[60:61], v[70:71], v[148:151]// 000000008E80: D3E10094 0E528D3C
	v_perm_b32 v104, v49, v48, s63                             // 000000008E88: D1ED0068 00FE6131
	v_perm_b32 v105, v49, v48, s64                             // 000000008E90: D1ED0069 01026131
	v_mfma_f32_16x16x16_bf16 v[148:151], a[64:65], v[72:73], v[148:151]// 000000008E98: D3E10094 0E529140
	ds_read_b128 v[112:115], v16 offset:9216                   // 000000008EA0: D9FE2400 70000010
	buffer_load_dword v45, v2, s[20:23], 0 idxen               // 000000008EA8: E0502000 80052D02
	v_mfma_f32_16x16x16_bf16 v[148:151], a[68:69], v[74:75], v[148:151]// 000000008EB0: D3E10094 0E529544
	v_perm_b32 v106, v51, v50, s63                             // 000000008EB8: D1ED006A 00FE6533
	v_perm_b32 v107, v51, v50, s64                             // 000000008EC0: D1ED006B 01026533
	v_mfma_f32_16x16x16_bf16 v[152:155], a[26:27], v[52:53], 0 // 000000008EC8: D3E10098 0A02691A
	ds_read_b128 v[116:119], v16 offset:10880                  // 000000008ED0: D9FE2A80 74000010
	buffer_load_dword v46, v3, s[20:23], 0 idxen               // 000000008ED8: E0502000 80052E03
	v_mfma_f32_16x16x16_bf16 v[152:155], a[30:31], v[54:55], v[152:155]// 000000008EE0: D3E10098 0E626D1E
	v_mov_b32_dpp v143, v140 quad_perm:[3,3,3,3] row_mask:0xf bank_mask:0xf// 000000008EE8: 7F1E02FA FF00FF8C
	v_mov_b32_dpp v142, v140 quad_perm:[2,2,2,2] row_mask:0xf bank_mask:0xf// 000000008EF0: 7F1C02FA FF00AA8C
	v_mov_b32_dpp v141, v140 quad_perm:[1,1,1,1] row_mask:0xf bank_mask:0xf// 000000008EF8: 7F1A02FA FF00558C
	v_mov_b32_dpp v140, v140 quad_perm:[0,0,0,0] row_mask:0xf bank_mask:0xf// 000000008F00: 7F1802FA FF00008C
	v_mfma_f32_16x16x16_bf16 v[152:155], a[34:35], v[56:57], v[152:155]// 000000008F08: D3E10098 0E627122
	ds_read_b128 v[120:123], v16 offset:11392                  // 000000008F10: D9FE2C80 78000010
	buffer_load_dword v47, v4, s[20:23], 0 idxen               // 000000008F18: E0502000 80052F04
	v_mfma_f32_16x16x16_bf16 v[152:155], a[38:39], v[58:59], v[152:155]// 000000008F20: D3E10098 0E627526
	v_mov_b32_dpp v147, v144 quad_perm:[3,3,3,3] row_mask:0xf bank_mask:0xf// 000000008F28: 7F2602FA FF00FF90
	v_mov_b32_dpp v146, v144 quad_perm:[2,2,2,2] row_mask:0xf bank_mask:0xf// 000000008F30: 7F2402FA FF00AA90
	v_mov_b32_dpp v145, v144 quad_perm:[1,1,1,1] row_mask:0xf bank_mask:0xf// 000000008F38: 7F2202FA FF005590
	v_mov_b32_dpp v144, v144 quad_perm:[0,0,0,0] row_mask:0xf bank_mask:0xf// 000000008F40: 7F2002FA FF000090
	s_add_u32 s60, 0x80, s59                                   // 000000008F48: 803C3BFF 00000080
	v_mfma_f32_16x16x16_bf16 v[152:155], a[42:43], v[60:61], v[152:155]// 000000008F50: D3E10098 0E62792A
	buffer_load_dword v15, s[24:27], 0 idxen lds               // 000000008F58: E0512000 8006000F
	v_mfma_f32_16x16x16_bf16 v[152:155], a[46:47], v[62:63], v[152:155]// 000000008F60: D3E10098 0E627D2E
	s_cmp_lt_u32 s60, s58                                      // 000000008F68: BF0A3A3C
	s_cselect_b32 s68, s68, 0                                  // 000000008F6C: 85448044
	s_cselect_b32 s69, s69, 0                                  // 000000008F70: 85458045
	v_mfma_f32_16x16x16_bf16 v[152:155], a[50:51], v[64:65], v[152:155]// 000000008F74: D3E10098 0E628132
	s_add_u32 s8, s68, s8                                      // 000000008F7C: 80080844
	s_addc_u32 s9, 0, s9                                       // 000000008F80: 82090980
	v_mfma_f32_16x16x16_bf16 v[152:155], a[54:55], v[66:67], v[152:155]// 000000008F84: D3E10098 0E628536
	s_add_u32 s20, s68, s20                                    // 000000008F8C: 80141444
	s_addc_u32 s21, 0, s21                                     // 000000008F90: 82151580
	v_mfma_f32_16x16x16_bf16 v[152:155], a[58:59], v[68:69], v[152:155]// 000000008F94: D3E10098 0E62893A
	s_mov_b32 m0, s81                                          // 000000008F9C: BEFC0051
	v_add_u32_e32 v15, s69, v15                                // 000000008FA0: 681E1E45
	v_mfma_f32_16x16x16_bf16 v[152:155], a[62:63], v[70:71], v[152:155]// 000000008FA4: D3E10098 0E628D3E
	s_cmp_ge_u32 s59, s73                                      // 000000008FAC: BF09493B
	s_cselect_b32 s66, s67, s66                                // 000000008FB0: 85424243
	v_mfma_f32_16x16x16_bf16 v[152:155], a[66:67], v[72:73], v[152:155]// 000000008FB4: D3E10098 0E629142
	s_addk_i32 s59, 0x20                                       // 000000008FBC: B73B0020
	s_nop 0                                                    // 000000008FC0: BF800000
	s_cmp_lt_i32 s59, s58                                      // 000000008FC4: BF043A3B
	v_mfma_f32_16x16x16_bf16 v[152:155], a[70:71], v[74:75], v[152:155]// 000000008FC8: D3E10098 0E629546
	s_cbranch_scc0 label_0D14                                  // 000000008FD0: BF84F89F
	s_branch label_0D17                                        // 000000008FD4: BF82F8A1

0000000000008fd8 <label_1476>:
	s_add_u32 s32, s66, s32                                    // 000000008FD8: 80202042
	s_addc_u32 s33, 0, s33                                     // 000000008FDC: 82212180
	v_lshrrev_b32_e32 v32, 5, v0                               // 000000008FE0: 20400085
	v_mul_i32_i24_e32 v31, 0x44, v32                           // 000000008FE4: 0C3E40FF 00000044
	v_and_b32_e32 v32, 31, v0                                  // 000000008FEC: 2640009F
	v_mul_i32_i24_e32 v33, 2, v32                              // 000000008FF0: 0C424082
	v_add_u32_e32 v31, v33, v31                                // 000000008FF4: 683E3F21
	s_mul_i32 s60, s47, 0x220                                  // 000000008FF8: 923CFF2F 00000220
	v_add_u32_e32 v31, s60, v31                                // 000000009000: 683E3E3C
	v_lshlrev_b32_e32 v31, 2, v31                              // 000000009004: 243E3E82
	v_mul_f32_e32 v148, s48, v148                              // 000000009008: 0B292830
	v_mul_f32_e32 v149, s48, v149                              // 00000000900C: 0B2B2A30
	v_mul_f32_e32 v150, s48, v150                              // 000000009010: 0B2D2C30
	v_mul_f32_e32 v151, s48, v151                              // 000000009014: 0B2F2E30
	v_mul_f32_e32 v152, s48, v152                              // 000000009018: 0B313030
	v_mul_f32_e32 v153, s48, v153                              // 00000000901C: 0B333230
	v_mul_f32_e32 v154, s48, v154                              // 000000009020: 0B353430
	v_mul_f32_e32 v155, s48, v155                              // 000000009024: 0B373630
	v_perm_b32 v148, v149, v148, s64                           // 000000009028: D1ED0094 01032995
	v_perm_b32 v149, v151, v150, s64                           // 000000009030: D1ED0095 01032D97
	v_perm_b32 v150, v153, v152, s64                           // 000000009038: D1ED0096 01033199
	v_perm_b32 v151, v155, v154, s64                           // 000000009040: D1ED0097 0103359B
	ds_write_b64 v26, v[148:149] offset:31232                  // 000000009048: D89A7A00 0000941A
	ds_write_b64 v26, v[150:151] offset:31776                  // 000000009050: D89A7C20 0000961A
	s_waitcnt lgkmcnt(0)                                       // 000000009058: BF8CC07F
	s_barrier                                                  // 00000000905C: BF8A0000
	ds_read_b32 v156, v25 offset:31232                         // 000000009060: D86C7A00 9C000019
	ds_read_b32 v157, v25 offset:31248                         // 000000009068: D86C7A10 9D000019
	ds_read_b32 v158, v25 offset:31264                         // 000000009070: D86C7A20 9E000019
	ds_read_b32 v159, v25 offset:31280                         // 000000009078: D86C7A30 9F000019
	s_waitcnt lgkmcnt(0)                                       // 000000009080: BF8CC07F
	s_barrier                                                  // 000000009084: BF8A0000
	global_atomic_pk_add_bf16 v6, v156, s[32:33]               // 000000009088: DD488000 00209C06
	global_atomic_pk_add_bf16 v8, v157, s[32:33]               // 000000009090: DD488000 00209D08
	global_atomic_pk_add_bf16 v10, v158, s[32:33]              // 000000009098: DD488000 00209E0A
	global_atomic_pk_add_bf16 v12, v159, s[32:33]              // 0000000090A0: DD488000 00209F0C
	v_lshrrev_b32_e32 v32, 3, v0                               // 0000000090A8: 20400083
	v_mul_i32_i24_e32 v30, 2, v32                              // 0000000090AC: 0C3C4082
	v_and_b32_e32 v32, 7, v0                                   // 0000000090B0: 26400087
	v_mul_i32_i24_e32 v33, 0x44, v32                           // 0000000090B4: 0C4240FF 00000044
	v_add_u32_e32 v30, v33, v30                                // 0000000090BC: 683C3D21
	s_mul_i32 s60, s47, 0x220                                  // 0000000090C0: 923CFF2F 00000220
	v_add_u32_e32 v30, s60, v30                                // 0000000090C8: 683C3C3C
	v_lshlrev_b32_e32 v30, 2, v30                              // 0000000090CC: 243C3C82
	v_accvgpr_read_b32 v34, a112                               // 0000000090D0: D3D84022 18000170
	v_accvgpr_read_b32 v35, a113                               // 0000000090D8: D3D84023 18000171
	v_mul_f32_e32 v34, s48, v34                                // 0000000090E0: 0A444430
	v_mul_f32_e32 v35, s48, v35                                // 0000000090E4: 0A464630
	v_cmp_u_f32_e64 s[78:79], v34, v34                         // 0000000090E8: D048004E 00024522
	v_bfe_u32 v228, v34, 16, 1                                 // 0000000090F0: D1C800E4 02052122
	v_add3_u32 v228, v34, v228, v231                           // 0000000090F8: D1FF00E4 079FC922
	v_cndmask_b32_e64 v32, v228, v230, s[78:79]                // 000000009100: D1000020 013BCDE4
	v_lshrrev_b32_e32 v32, 16, v32                             // 000000009108: 20404090
	v_cmp_u_f32_e64 s[78:79], v35, v35                         // 00000000910C: D048004E 00024723
	v_bfe_u32 v228, v35, 16, 1                                 // 000000009114: D1C800E4 02052123
	v_add3_u32 v228, v35, v228, v231                           // 00000000911C: D1FF00E4 079FC923
	v_cndmask_b32_e64 v33, v228, v230, s[78:79]                // 000000009124: D1000021 013BCDE4
	v_and_or_b32 v52, v33, v229, v32                           // 00000000912C: D2010034 0483CB21
	v_accvgpr_read_b32 v34, a114                               // 000000009134: D3D84022 18000172
	v_accvgpr_read_b32 v35, a115                               // 00000000913C: D3D84023 18000173
	v_mul_f32_e32 v34, s48, v34                                // 000000009144: 0A444430
	v_mul_f32_e32 v35, s48, v35                                // 000000009148: 0A464630
	v_cmp_u_f32_e64 s[78:79], v34, v34                         // 00000000914C: D048004E 00024522
	v_bfe_u32 v228, v34, 16, 1                                 // 000000009154: D1C800E4 02052122
	v_add3_u32 v228, v34, v228, v231                           // 00000000915C: D1FF00E4 079FC922
	v_cndmask_b32_e64 v32, v228, v230, s[78:79]                // 000000009164: D1000020 013BCDE4
	v_lshrrev_b32_e32 v32, 16, v32                             // 00000000916C: 20404090
	v_cmp_u_f32_e64 s[78:79], v35, v35                         // 000000009170: D048004E 00024723
	v_bfe_u32 v228, v35, 16, 1                                 // 000000009178: D1C800E4 02052123
	v_add3_u32 v228, v35, v228, v231                           // 000000009180: D1FF00E4 079FC923
	v_cndmask_b32_e64 v33, v228, v230, s[78:79]                // 000000009188: D1000021 013BCDE4
	v_and_or_b32 v53, v33, v229, v32                           // 000000009190: D2010035 0483CB21
	v_accvgpr_read_b32 v34, a116                               // 000000009198: D3D84022 18000174
	v_accvgpr_read_b32 v35, a117                               // 0000000091A0: D3D84023 18000175
	v_mul_f32_e32 v34, s48, v34                                // 0000000091A8: 0A444430
	v_mul_f32_e32 v35, s48, v35                                // 0000000091AC: 0A464630
	v_cmp_u_f32_e64 s[78:79], v34, v34                         // 0000000091B0: D048004E 00024522
	v_bfe_u32 v228, v34, 16, 1                                 // 0000000091B8: D1C800E4 02052122
	v_add3_u32 v228, v34, v228, v231                           // 0000000091C0: D1FF00E4 079FC922
	v_cndmask_b32_e64 v32, v228, v230, s[78:79]                // 0000000091C8: D1000020 013BCDE4
	v_lshrrev_b32_e32 v32, 16, v32                             // 0000000091D0: 20404090
	v_cmp_u_f32_e64 s[78:79], v35, v35                         // 0000000091D4: D048004E 00024723
	v_bfe_u32 v228, v35, 16, 1                                 // 0000000091DC: D1C800E4 02052123
	v_add3_u32 v228, v35, v228, v231                           // 0000000091E4: D1FF00E4 079FC923
	v_cndmask_b32_e64 v33, v228, v230, s[78:79]                // 0000000091EC: D1000021 013BCDE4
	v_and_or_b32 v54, v33, v229, v32                           // 0000000091F4: D2010036 0483CB21
	v_accvgpr_read_b32 v34, a118                               // 0000000091FC: D3D84022 18000176
	v_accvgpr_read_b32 v35, a119                               // 000000009204: D3D84023 18000177
	v_mul_f32_e32 v34, s48, v34                                // 00000000920C: 0A444430
	v_mul_f32_e32 v35, s48, v35                                // 000000009210: 0A464630
	v_cmp_u_f32_e64 s[78:79], v34, v34                         // 000000009214: D048004E 00024522
	v_bfe_u32 v228, v34, 16, 1                                 // 00000000921C: D1C800E4 02052122
	v_add3_u32 v228, v34, v228, v231                           // 000000009224: D1FF00E4 079FC922
	v_cndmask_b32_e64 v32, v228, v230, s[78:79]                // 00000000922C: D1000020 013BCDE4
	v_lshrrev_b32_e32 v32, 16, v32                             // 000000009234: 20404090
	v_cmp_u_f32_e64 s[78:79], v35, v35                         // 000000009238: D048004E 00024723
	v_bfe_u32 v228, v35, 16, 1                                 // 000000009240: D1C800E4 02052123
	v_add3_u32 v228, v35, v228, v231                           // 000000009248: D1FF00E4 079FC923
	v_cndmask_b32_e64 v33, v228, v230, s[78:79]                // 000000009250: D1000021 013BCDE4
	v_and_or_b32 v55, v33, v229, v32                           // 000000009258: D2010037 0483CB21
	v_accvgpr_read_b32 v34, a120                               // 000000009260: D3D84022 18000178
	v_accvgpr_read_b32 v35, a121                               // 000000009268: D3D84023 18000179
	v_mul_f32_e32 v34, s48, v34                                // 000000009270: 0A444430
	v_mul_f32_e32 v35, s48, v35                                // 000000009274: 0A464630
	v_cmp_u_f32_e64 s[78:79], v34, v34                         // 000000009278: D048004E 00024522
	v_bfe_u32 v228, v34, 16, 1                                 // 000000009280: D1C800E4 02052122
	v_add3_u32 v228, v34, v228, v231                           // 000000009288: D1FF00E4 079FC922
	v_cndmask_b32_e64 v32, v228, v230, s[78:79]                // 000000009290: D1000020 013BCDE4
	v_lshrrev_b32_e32 v32, 16, v32                             // 000000009298: 20404090
	v_cmp_u_f32_e64 s[78:79], v35, v35                         // 00000000929C: D048004E 00024723
	v_bfe_u32 v228, v35, 16, 1                                 // 0000000092A4: D1C800E4 02052123
	v_add3_u32 v228, v35, v228, v231                           // 0000000092AC: D1FF00E4 079FC923
	v_cndmask_b32_e64 v33, v228, v230, s[78:79]                // 0000000092B4: D1000021 013BCDE4
	v_and_or_b32 v56, v33, v229, v32                           // 0000000092BC: D2010038 0483CB21
	v_accvgpr_read_b32 v34, a122                               // 0000000092C4: D3D84022 1800017A
	v_accvgpr_read_b32 v35, a123                               // 0000000092CC: D3D84023 1800017B
	v_mul_f32_e32 v34, s48, v34                                // 0000000092D4: 0A444430
	v_mul_f32_e32 v35, s48, v35                                // 0000000092D8: 0A464630
	v_cmp_u_f32_e64 s[78:79], v34, v34                         // 0000000092DC: D048004E 00024522
	v_bfe_u32 v228, v34, 16, 1                                 // 0000000092E4: D1C800E4 02052122
	v_add3_u32 v228, v34, v228, v231                           // 0000000092EC: D1FF00E4 079FC922
	v_cndmask_b32_e64 v32, v228, v230, s[78:79]                // 0000000092F4: D1000020 013BCDE4
	v_lshrrev_b32_e32 v32, 16, v32                             // 0000000092FC: 20404090
	v_cmp_u_f32_e64 s[78:79], v35, v35                         // 000000009300: D048004E 00024723
	v_bfe_u32 v228, v35, 16, 1                                 // 000000009308: D1C800E4 02052123
	v_add3_u32 v228, v35, v228, v231                           // 000000009310: D1FF00E4 079FC923
	v_cndmask_b32_e64 v33, v228, v230, s[78:79]                // 000000009318: D1000021 013BCDE4
	v_and_or_b32 v57, v33, v229, v32                           // 000000009320: D2010039 0483CB21
	v_accvgpr_read_b32 v34, a124                               // 000000009328: D3D84022 1800017C
	v_accvgpr_read_b32 v35, a125                               // 000000009330: D3D84023 1800017D
	v_mul_f32_e32 v34, s48, v34                                // 000000009338: 0A444430
	v_mul_f32_e32 v35, s48, v35                                // 00000000933C: 0A464630
	v_cmp_u_f32_e64 s[78:79], v34, v34                         // 000000009340: D048004E 00024522
	v_bfe_u32 v228, v34, 16, 1                                 // 000000009348: D1C800E4 02052122
	v_add3_u32 v228, v34, v228, v231                           // 000000009350: D1FF00E4 079FC922
	v_cndmask_b32_e64 v32, v228, v230, s[78:79]                // 000000009358: D1000020 013BCDE4
	v_lshrrev_b32_e32 v32, 16, v32                             // 000000009360: 20404090
	v_cmp_u_f32_e64 s[78:79], v35, v35                         // 000000009364: D048004E 00024723
	v_bfe_u32 v228, v35, 16, 1                                 // 00000000936C: D1C800E4 02052123
	v_add3_u32 v228, v35, v228, v231                           // 000000009374: D1FF00E4 079FC923
	v_cndmask_b32_e64 v33, v228, v230, s[78:79]                // 00000000937C: D1000021 013BCDE4
	v_and_or_b32 v58, v33, v229, v32                           // 000000009384: D201003A 0483CB21
	v_accvgpr_read_b32 v34, a126                               // 00000000938C: D3D84022 1800017E
	v_accvgpr_read_b32 v35, a127                               // 000000009394: D3D84023 1800017F
	v_mul_f32_e32 v34, s48, v34                                // 00000000939C: 0A444430
	v_mul_f32_e32 v35, s48, v35                                // 0000000093A0: 0A464630
	v_cmp_u_f32_e64 s[78:79], v34, v34                         // 0000000093A4: D048004E 00024522
	v_bfe_u32 v228, v34, 16, 1                                 // 0000000093AC: D1C800E4 02052122
	v_add3_u32 v228, v34, v228, v231                           // 0000000093B4: D1FF00E4 079FC922
	v_cndmask_b32_e64 v32, v228, v230, s[78:79]                // 0000000093BC: D1000020 013BCDE4
	v_lshrrev_b32_e32 v32, 16, v32                             // 0000000093C4: 20404090
	v_cmp_u_f32_e64 s[78:79], v35, v35                         // 0000000093C8: D048004E 00024723
	v_bfe_u32 v228, v35, 16, 1                                 // 0000000093D0: D1C800E4 02052123
	v_add3_u32 v228, v35, v228, v231                           // 0000000093D8: D1FF00E4 079FC923
	v_cndmask_b32_e64 v33, v228, v230, s[78:79]                // 0000000093E0: D1000021 013BCDE4
	v_and_or_b32 v59, v33, v229, v32                           // 0000000093E8: D201003B 0483CB21
	ds_write_b64 v31, v[52:53]                                 // 0000000093F0: D89A0000 0000341F
	ds_write_b64 v31, v[54:55] offset:544                      // 0000000093F8: D89A0220 0000361F
	ds_write_b64 v31, v[56:57] offset:1088                     // 000000009400: D89A0440 0000381F
	ds_write_b64 v31, v[58:59] offset:1632                     // 000000009408: D89A0660 00003A1F
	s_waitcnt lgkmcnt(0)                                       // 000000009410: BF8CC07F
	s_barrier                                                  // 000000009414: BF8A0000
	ds_read_b64 v[52:53], v30                                  // 000000009418: D8EC0000 3400001E
	ds_read_b64 v[54:55], v30 offset:128                       // 000000009420: D8EC0080 3600001E
	ds_read_b64 v[56:57], v30 offset:64                        // 000000009428: D8EC0040 3800001E
	ds_read_b64 v[58:59], v30 offset:192                       // 000000009430: D8EC00C0 3A00001E
	s_waitcnt lgkmcnt(0)                                       // 000000009438: BF8CC07F
	buffer_store_dwordx4 v[52:55], v5, s[36:39], 0 idxen       // 00000000943C: E07C2000 80093405
	s_mul_i32 s60, 2, s46                                      // 000000009444: 923C2E82
	v_add_u32_e32 v5, s60, v5                                  // 000000009448: 680A0A3C
	buffer_store_dwordx4 v[56:59], v5, s[36:39], 0 idxen       // 00000000944C: E07C2000 80093805
	s_mul_i32 s60, 2, s46                                      // 000000009454: 923C2E82
	v_add_u32_e32 v5, s60, v5                                  // 000000009458: 680A0A3C
	s_mul_i32 s60, 12, s46                                     // 00000000945C: 923C2E8C
	v_add_u32_e32 v5, s60, v5                                  // 000000009460: 680A0A3C
	s_barrier                                                  // 000000009464: BF8A0000
	s_cmp_ge_i32 1, s72                                        // 000000009468: BF034881
	s_cbranch_scc1 label_176C                                  // 00000000946C: BF8501D0
	v_accvgpr_read_b32 v34, a128                               // 000000009470: D3D84022 18000180
	v_accvgpr_read_b32 v35, a129                               // 000000009478: D3D84023 18000181
	v_mul_f32_e32 v34, s48, v34                                // 000000009480: 0A444430
	v_mul_f32_e32 v35, s48, v35                                // 000000009484: 0A464630
	v_cmp_u_f32_e64 s[78:79], v34, v34                         // 000000009488: D048004E 00024522
	v_bfe_u32 v228, v34, 16, 1                                 // 000000009490: D1C800E4 02052122
	v_add3_u32 v228, v34, v228, v231                           // 000000009498: D1FF00E4 079FC922
	v_cndmask_b32_e64 v32, v228, v230, s[78:79]                // 0000000094A0: D1000020 013BCDE4
	v_lshrrev_b32_e32 v32, 16, v32                             // 0000000094A8: 20404090
	v_cmp_u_f32_e64 s[78:79], v35, v35                         // 0000000094AC: D048004E 00024723
	v_bfe_u32 v228, v35, 16, 1                                 // 0000000094B4: D1C800E4 02052123
	v_add3_u32 v228, v35, v228, v231                           // 0000000094BC: D1FF00E4 079FC923
	v_cndmask_b32_e64 v33, v228, v230, s[78:79]                // 0000000094C4: D1000021 013BCDE4
	v_and_or_b32 v60, v33, v229, v32                           // 0000000094CC: D201003C 0483CB21
	v_accvgpr_read_b32 v34, a130                               // 0000000094D4: D3D84022 18000182
	v_accvgpr_read_b32 v35, a131                               // 0000000094DC: D3D84023 18000183
	v_mul_f32_e32 v34, s48, v34                                // 0000000094E4: 0A444430
	v_mul_f32_e32 v35, s48, v35                                // 0000000094E8: 0A464630
	v_cmp_u_f32_e64 s[78:79], v34, v34                         // 0000000094EC: D048004E 00024522
	v_bfe_u32 v228, v34, 16, 1                                 // 0000000094F4: D1C800E4 02052122
	v_add3_u32 v228, v34, v228, v231                           // 0000000094FC: D1FF00E4 079FC922
	v_cndmask_b32_e64 v32, v228, v230, s[78:79]                // 000000009504: D1000020 013BCDE4
	v_lshrrev_b32_e32 v32, 16, v32                             // 00000000950C: 20404090
	v_cmp_u_f32_e64 s[78:79], v35, v35                         // 000000009510: D048004E 00024723
	v_bfe_u32 v228, v35, 16, 1                                 // 000000009518: D1C800E4 02052123
	v_add3_u32 v228, v35, v228, v231                           // 000000009520: D1FF00E4 079FC923
	v_cndmask_b32_e64 v33, v228, v230, s[78:79]                // 000000009528: D1000021 013BCDE4
	v_and_or_b32 v61, v33, v229, v32                           // 000000009530: D201003D 0483CB21
	v_accvgpr_read_b32 v34, a132                               // 000000009538: D3D84022 18000184
	v_accvgpr_read_b32 v35, a133                               // 000000009540: D3D84023 18000185
	v_mul_f32_e32 v34, s48, v34                                // 000000009548: 0A444430
	v_mul_f32_e32 v35, s48, v35                                // 00000000954C: 0A464630
	v_cmp_u_f32_e64 s[78:79], v34, v34                         // 000000009550: D048004E 00024522
	v_bfe_u32 v228, v34, 16, 1                                 // 000000009558: D1C800E4 02052122
	v_add3_u32 v228, v34, v228, v231                           // 000000009560: D1FF00E4 079FC922
	v_cndmask_b32_e64 v32, v228, v230, s[78:79]                // 000000009568: D1000020 013BCDE4
	v_lshrrev_b32_e32 v32, 16, v32                             // 000000009570: 20404090
	v_cmp_u_f32_e64 s[78:79], v35, v35                         // 000000009574: D048004E 00024723
	v_bfe_u32 v228, v35, 16, 1                                 // 00000000957C: D1C800E4 02052123
	v_add3_u32 v228, v35, v228, v231                           // 000000009584: D1FF00E4 079FC923
	v_cndmask_b32_e64 v33, v228, v230, s[78:79]                // 00000000958C: D1000021 013BCDE4
	v_and_or_b32 v62, v33, v229, v32                           // 000000009594: D201003E 0483CB21
	v_accvgpr_read_b32 v34, a134                               // 00000000959C: D3D84022 18000186
	v_accvgpr_read_b32 v35, a135                               // 0000000095A4: D3D84023 18000187
	v_mul_f32_e32 v34, s48, v34                                // 0000000095AC: 0A444430
	v_mul_f32_e32 v35, s48, v35                                // 0000000095B0: 0A464630
	v_cmp_u_f32_e64 s[78:79], v34, v34                         // 0000000095B4: D048004E 00024522
	v_bfe_u32 v228, v34, 16, 1                                 // 0000000095BC: D1C800E4 02052122
	v_add3_u32 v228, v34, v228, v231                           // 0000000095C4: D1FF00E4 079FC922
	v_cndmask_b32_e64 v32, v228, v230, s[78:79]                // 0000000095CC: D1000020 013BCDE4
	v_lshrrev_b32_e32 v32, 16, v32                             // 0000000095D4: 20404090
	v_cmp_u_f32_e64 s[78:79], v35, v35                         // 0000000095D8: D048004E 00024723
	v_bfe_u32 v228, v35, 16, 1                                 // 0000000095E0: D1C800E4 02052123
	v_add3_u32 v228, v35, v228, v231                           // 0000000095E8: D1FF00E4 079FC923
	v_cndmask_b32_e64 v33, v228, v230, s[78:79]                // 0000000095F0: D1000021 013BCDE4
	v_and_or_b32 v63, v33, v229, v32                           // 0000000095F8: D201003F 0483CB21
	v_accvgpr_read_b32 v34, a136                               // 000000009600: D3D84022 18000188
	v_accvgpr_read_b32 v35, a137                               // 000000009608: D3D84023 18000189
	v_mul_f32_e32 v34, s48, v34                                // 000000009610: 0A444430
	v_mul_f32_e32 v35, s48, v35                                // 000000009614: 0A464630
	v_cmp_u_f32_e64 s[78:79], v34, v34                         // 000000009618: D048004E 00024522
	v_bfe_u32 v228, v34, 16, 1                                 // 000000009620: D1C800E4 02052122
	v_add3_u32 v228, v34, v228, v231                           // 000000009628: D1FF00E4 079FC922
	v_cndmask_b32_e64 v32, v228, v230, s[78:79]                // 000000009630: D1000020 013BCDE4
	v_lshrrev_b32_e32 v32, 16, v32                             // 000000009638: 20404090
	v_cmp_u_f32_e64 s[78:79], v35, v35                         // 00000000963C: D048004E 00024723
	v_bfe_u32 v228, v35, 16, 1                                 // 000000009644: D1C800E4 02052123
	v_add3_u32 v228, v35, v228, v231                           // 00000000964C: D1FF00E4 079FC923
	v_cndmask_b32_e64 v33, v228, v230, s[78:79]                // 000000009654: D1000021 013BCDE4
	v_and_or_b32 v64, v33, v229, v32                           // 00000000965C: D2010040 0483CB21
	v_accvgpr_read_b32 v34, a138                               // 000000009664: D3D84022 1800018A
	v_accvgpr_read_b32 v35, a139                               // 00000000966C: D3D84023 1800018B
	v_mul_f32_e32 v34, s48, v34                                // 000000009674: 0A444430
	v_mul_f32_e32 v35, s48, v35                                // 000000009678: 0A464630
	v_cmp_u_f32_e64 s[78:79], v34, v34                         // 00000000967C: D048004E 00024522
	v_bfe_u32 v228, v34, 16, 1                                 // 000000009684: D1C800E4 02052122
	v_add3_u32 v228, v34, v228, v231                           // 00000000968C: D1FF00E4 079FC922
	v_cndmask_b32_e64 v32, v228, v230, s[78:79]                // 000000009694: D1000020 013BCDE4
	v_lshrrev_b32_e32 v32, 16, v32                             // 00000000969C: 20404090
	v_cmp_u_f32_e64 s[78:79], v35, v35                         // 0000000096A0: D048004E 00024723
	v_bfe_u32 v228, v35, 16, 1                                 // 0000000096A8: D1C800E4 02052123
	v_add3_u32 v228, v35, v228, v231                           // 0000000096B0: D1FF00E4 079FC923
	v_cndmask_b32_e64 v33, v228, v230, s[78:79]                // 0000000096B8: D1000021 013BCDE4
	v_and_or_b32 v65, v33, v229, v32                           // 0000000096C0: D2010041 0483CB21
	v_accvgpr_read_b32 v34, a140                               // 0000000096C8: D3D84022 1800018C
	v_accvgpr_read_b32 v35, a141                               // 0000000096D0: D3D84023 1800018D
	v_mul_f32_e32 v34, s48, v34                                // 0000000096D8: 0A444430
	v_mul_f32_e32 v35, s48, v35                                // 0000000096DC: 0A464630
	v_cmp_u_f32_e64 s[78:79], v34, v34                         // 0000000096E0: D048004E 00024522
	v_bfe_u32 v228, v34, 16, 1                                 // 0000000096E8: D1C800E4 02052122
	v_add3_u32 v228, v34, v228, v231                           // 0000000096F0: D1FF00E4 079FC922
	v_cndmask_b32_e64 v32, v228, v230, s[78:79]                // 0000000096F8: D1000020 013BCDE4
	v_lshrrev_b32_e32 v32, 16, v32                             // 000000009700: 20404090
	v_cmp_u_f32_e64 s[78:79], v35, v35                         // 000000009704: D048004E 00024723
	v_bfe_u32 v228, v35, 16, 1                                 // 00000000970C: D1C800E4 02052123
	v_add3_u32 v228, v35, v228, v231                           // 000000009714: D1FF00E4 079FC923
	v_cndmask_b32_e64 v33, v228, v230, s[78:79]                // 00000000971C: D1000021 013BCDE4
	v_and_or_b32 v66, v33, v229, v32                           // 000000009724: D2010042 0483CB21
	v_accvgpr_read_b32 v34, a142                               // 00000000972C: D3D84022 1800018E
	v_accvgpr_read_b32 v35, a143                               // 000000009734: D3D84023 1800018F
	v_mul_f32_e32 v34, s48, v34                                // 00000000973C: 0A444430
	v_mul_f32_e32 v35, s48, v35                                // 000000009740: 0A464630
	v_cmp_u_f32_e64 s[78:79], v34, v34                         // 000000009744: D048004E 00024522
	v_bfe_u32 v228, v34, 16, 1                                 // 00000000974C: D1C800E4 02052122
	v_add3_u32 v228, v34, v228, v231                           // 000000009754: D1FF00E4 079FC922
	v_cndmask_b32_e64 v32, v228, v230, s[78:79]                // 00000000975C: D1000020 013BCDE4
	v_lshrrev_b32_e32 v32, 16, v32                             // 000000009764: 20404090
	v_cmp_u_f32_e64 s[78:79], v35, v35                         // 000000009768: D048004E 00024723
	v_bfe_u32 v228, v35, 16, 1                                 // 000000009770: D1C800E4 02052123
	v_add3_u32 v228, v35, v228, v231                           // 000000009778: D1FF00E4 079FC923
	v_cndmask_b32_e64 v33, v228, v230, s[78:79]                // 000000009780: D1000021 013BCDE4
	v_and_or_b32 v67, v33, v229, v32                           // 000000009788: D2010043 0483CB21
	ds_write_b64 v31, v[60:61] offset:8704                     // 000000009790: D89A2200 00003C1F
	ds_write_b64 v31, v[62:63] offset:9248                     // 000000009798: D89A2420 00003E1F
	ds_write_b64 v31, v[64:65] offset:9792                     // 0000000097A0: D89A2640 0000401F
	ds_write_b64 v31, v[66:67] offset:10336                    // 0000000097A8: D89A2860 0000421F
	s_waitcnt lgkmcnt(0)                                       // 0000000097B0: BF8CC07F
	s_barrier                                                  // 0000000097B4: BF8A0000
	ds_read_b64 v[60:61], v30 offset:8704                      // 0000000097B8: D8EC2200 3C00001E
	ds_read_b64 v[62:63], v30 offset:8832                      // 0000000097C0: D8EC2280 3E00001E
	ds_read_b64 v[64:65], v30 offset:8768                      // 0000000097C8: D8EC2240 4000001E
	ds_read_b64 v[66:67], v30 offset:8896                      // 0000000097D0: D8EC22C0 4200001E
	s_waitcnt lgkmcnt(0)                                       // 0000000097D8: BF8CC07F
	buffer_store_dwordx4 v[60:63], v5, s[36:39], 0 idxen       // 0000000097DC: E07C2000 80093C05
	s_mul_i32 s60, 2, s46                                      // 0000000097E4: 923C2E82
	v_add_u32_e32 v5, s60, v5                                  // 0000000097E8: 680A0A3C
	buffer_store_dwordx4 v[64:67], v5, s[36:39], 0 idxen       // 0000000097EC: E07C2000 80094005
	s_mul_i32 s60, 2, s46                                      // 0000000097F4: 923C2E82
	v_add_u32_e32 v5, s60, v5                                  // 0000000097F8: 680A0A3C
	s_mul_i32 s60, 12, s46                                     // 0000000097FC: 923C2E8C
	v_add_u32_e32 v5, s60, v5                                  // 000000009800: 680A0A3C
	s_barrier                                                  // 000000009804: BF8A0000
	s_cmp_ge_i32 2, s72                                        // 000000009808: BF034882
	s_cbranch_scc1 label_176C                                  // 00000000980C: BF8500E8
	v_accvgpr_read_b32 v34, a144                               // 000000009810: D3D84022 18000190
	v_accvgpr_read_b32 v35, a145                               // 000000009818: D3D84023 18000191
	v_mul_f32_e32 v34, s48, v34                                // 000000009820: 0A444430
	v_mul_f32_e32 v35, s48, v35                                // 000000009824: 0A464630
	v_cmp_u_f32_e64 s[78:79], v34, v34                         // 000000009828: D048004E 00024522
	v_bfe_u32 v228, v34, 16, 1                                 // 000000009830: D1C800E4 02052122
	v_add3_u32 v228, v34, v228, v231                           // 000000009838: D1FF00E4 079FC922
	v_cndmask_b32_e64 v32, v228, v230, s[78:79]                // 000000009840: D1000020 013BCDE4
	v_lshrrev_b32_e32 v32, 16, v32                             // 000000009848: 20404090
	v_cmp_u_f32_e64 s[78:79], v35, v35                         // 00000000984C: D048004E 00024723
	v_bfe_u32 v228, v35, 16, 1                                 // 000000009854: D1C800E4 02052123
	v_add3_u32 v228, v35, v228, v231                           // 00000000985C: D1FF00E4 079FC923
	v_cndmask_b32_e64 v33, v228, v230, s[78:79]                // 000000009864: D1000021 013BCDE4
	v_and_or_b32 v68, v33, v229, v32                           // 00000000986C: D2010044 0483CB21
	v_accvgpr_read_b32 v34, a146                               // 000000009874: D3D84022 18000192
	v_accvgpr_read_b32 v35, a147                               // 00000000987C: D3D84023 18000193
	v_mul_f32_e32 v34, s48, v34                                // 000000009884: 0A444430
	v_mul_f32_e32 v35, s48, v35                                // 000000009888: 0A464630
	v_cmp_u_f32_e64 s[78:79], v34, v34                         // 00000000988C: D048004E 00024522
	v_bfe_u32 v228, v34, 16, 1                                 // 000000009894: D1C800E4 02052122
	v_add3_u32 v228, v34, v228, v231                           // 00000000989C: D1FF00E4 079FC922
	v_cndmask_b32_e64 v32, v228, v230, s[78:79]                // 0000000098A4: D1000020 013BCDE4
	v_lshrrev_b32_e32 v32, 16, v32                             // 0000000098AC: 20404090
	v_cmp_u_f32_e64 s[78:79], v35, v35                         // 0000000098B0: D048004E 00024723
	v_bfe_u32 v228, v35, 16, 1                                 // 0000000098B8: D1C800E4 02052123
	v_add3_u32 v228, v35, v228, v231                           // 0000000098C0: D1FF00E4 079FC923
	v_cndmask_b32_e64 v33, v228, v230, s[78:79]                // 0000000098C8: D1000021 013BCDE4
	v_and_or_b32 v69, v33, v229, v32                           // 0000000098D0: D2010045 0483CB21
	v_accvgpr_read_b32 v34, a148                               // 0000000098D8: D3D84022 18000194
	v_accvgpr_read_b32 v35, a149                               // 0000000098E0: D3D84023 18000195
	v_mul_f32_e32 v34, s48, v34                                // 0000000098E8: 0A444430
	v_mul_f32_e32 v35, s48, v35                                // 0000000098EC: 0A464630
	v_cmp_u_f32_e64 s[78:79], v34, v34                         // 0000000098F0: D048004E 00024522
	v_bfe_u32 v228, v34, 16, 1                                 // 0000000098F8: D1C800E4 02052122
	v_add3_u32 v228, v34, v228, v231                           // 000000009900: D1FF00E4 079FC922
	v_cndmask_b32_e64 v32, v228, v230, s[78:79]                // 000000009908: D1000020 013BCDE4
	v_lshrrev_b32_e32 v32, 16, v32                             // 000000009910: 20404090
	v_cmp_u_f32_e64 s[78:79], v35, v35                         // 000000009914: D048004E 00024723
	v_bfe_u32 v228, v35, 16, 1                                 // 00000000991C: D1C800E4 02052123
	v_add3_u32 v228, v35, v228, v231                           // 000000009924: D1FF00E4 079FC923
	v_cndmask_b32_e64 v33, v228, v230, s[78:79]                // 00000000992C: D1000021 013BCDE4
	v_and_or_b32 v70, v33, v229, v32                           // 000000009934: D2010046 0483CB21
	v_accvgpr_read_b32 v34, a150                               // 00000000993C: D3D84022 18000196
	v_accvgpr_read_b32 v35, a151                               // 000000009944: D3D84023 18000197
	v_mul_f32_e32 v34, s48, v34                                // 00000000994C: 0A444430
	v_mul_f32_e32 v35, s48, v35                                // 000000009950: 0A464630
	v_cmp_u_f32_e64 s[78:79], v34, v34                         // 000000009954: D048004E 00024522
	v_bfe_u32 v228, v34, 16, 1                                 // 00000000995C: D1C800E4 02052122
	v_add3_u32 v228, v34, v228, v231                           // 000000009964: D1FF00E4 079FC922
	v_cndmask_b32_e64 v32, v228, v230, s[78:79]                // 00000000996C: D1000020 013BCDE4
	v_lshrrev_b32_e32 v32, 16, v32                             // 000000009974: 20404090
	v_cmp_u_f32_e64 s[78:79], v35, v35                         // 000000009978: D048004E 00024723
	v_bfe_u32 v228, v35, 16, 1                                 // 000000009980: D1C800E4 02052123
	v_add3_u32 v228, v35, v228, v231                           // 000000009988: D1FF00E4 079FC923
	v_cndmask_b32_e64 v33, v228, v230, s[78:79]                // 000000009990: D1000021 013BCDE4
	v_and_or_b32 v71, v33, v229, v32                           // 000000009998: D2010047 0483CB21
	v_accvgpr_read_b32 v34, a152                               // 0000000099A0: D3D84022 18000198
	v_accvgpr_read_b32 v35, a153                               // 0000000099A8: D3D84023 18000199
	v_mul_f32_e32 v34, s48, v34                                // 0000000099B0: 0A444430
	v_mul_f32_e32 v35, s48, v35                                // 0000000099B4: 0A464630
	v_cmp_u_f32_e64 s[78:79], v34, v34                         // 0000000099B8: D048004E 00024522
	v_bfe_u32 v228, v34, 16, 1                                 // 0000000099C0: D1C800E4 02052122
	v_add3_u32 v228, v34, v228, v231                           // 0000000099C8: D1FF00E4 079FC922
	v_cndmask_b32_e64 v32, v228, v230, s[78:79]                // 0000000099D0: D1000020 013BCDE4
	v_lshrrev_b32_e32 v32, 16, v32                             // 0000000099D8: 20404090
	v_cmp_u_f32_e64 s[78:79], v35, v35                         // 0000000099DC: D048004E 00024723
	v_bfe_u32 v228, v35, 16, 1                                 // 0000000099E4: D1C800E4 02052123
	v_add3_u32 v228, v35, v228, v231                           // 0000000099EC: D1FF00E4 079FC923
	v_cndmask_b32_e64 v33, v228, v230, s[78:79]                // 0000000099F4: D1000021 013BCDE4
	v_and_or_b32 v72, v33, v229, v32                           // 0000000099FC: D2010048 0483CB21
	v_accvgpr_read_b32 v34, a154                               // 000000009A04: D3D84022 1800019A
	v_accvgpr_read_b32 v35, a155                               // 000000009A0C: D3D84023 1800019B
	v_mul_f32_e32 v34, s48, v34                                // 000000009A14: 0A444430
	v_mul_f32_e32 v35, s48, v35                                // 000000009A18: 0A464630
	v_cmp_u_f32_e64 s[78:79], v34, v34                         // 000000009A1C: D048004E 00024522
	v_bfe_u32 v228, v34, 16, 1                                 // 000000009A24: D1C800E4 02052122
	v_add3_u32 v228, v34, v228, v231                           // 000000009A2C: D1FF00E4 079FC922
	v_cndmask_b32_e64 v32, v228, v230, s[78:79]                // 000000009A34: D1000020 013BCDE4
	v_lshrrev_b32_e32 v32, 16, v32                             // 000000009A3C: 20404090
	v_cmp_u_f32_e64 s[78:79], v35, v35                         // 000000009A40: D048004E 00024723
	v_bfe_u32 v228, v35, 16, 1                                 // 000000009A48: D1C800E4 02052123
	v_add3_u32 v228, v35, v228, v231                           // 000000009A50: D1FF00E4 079FC923
	v_cndmask_b32_e64 v33, v228, v230, s[78:79]                // 000000009A58: D1000021 013BCDE4
	v_and_or_b32 v73, v33, v229, v32                           // 000000009A60: D2010049 0483CB21
	v_accvgpr_read_b32 v34, a156                               // 000000009A68: D3D84022 1800019C
	v_accvgpr_read_b32 v35, a157                               // 000000009A70: D3D84023 1800019D
	v_mul_f32_e32 v34, s48, v34                                // 000000009A78: 0A444430
	v_mul_f32_e32 v35, s48, v35                                // 000000009A7C: 0A464630
	v_cmp_u_f32_e64 s[78:79], v34, v34                         // 000000009A80: D048004E 00024522
	v_bfe_u32 v228, v34, 16, 1                                 // 000000009A88: D1C800E4 02052122
	v_add3_u32 v228, v34, v228, v231                           // 000000009A90: D1FF00E4 079FC922
	v_cndmask_b32_e64 v32, v228, v230, s[78:79]                // 000000009A98: D1000020 013BCDE4
	v_lshrrev_b32_e32 v32, 16, v32                             // 000000009AA0: 20404090
	v_cmp_u_f32_e64 s[78:79], v35, v35                         // 000000009AA4: D048004E 00024723
	v_bfe_u32 v228, v35, 16, 1                                 // 000000009AAC: D1C800E4 02052123
	v_add3_u32 v228, v35, v228, v231                           // 000000009AB4: D1FF00E4 079FC923
	v_cndmask_b32_e64 v33, v228, v230, s[78:79]                // 000000009ABC: D1000021 013BCDE4
	v_and_or_b32 v74, v33, v229, v32                           // 000000009AC4: D201004A 0483CB21
	v_accvgpr_read_b32 v34, a158                               // 000000009ACC: D3D84022 1800019E
	v_accvgpr_read_b32 v35, a159                               // 000000009AD4: D3D84023 1800019F
	v_mul_f32_e32 v34, s48, v34                                // 000000009ADC: 0A444430
	v_mul_f32_e32 v35, s48, v35                                // 000000009AE0: 0A464630
	v_cmp_u_f32_e64 s[78:79], v34, v34                         // 000000009AE4: D048004E 00024522
	v_bfe_u32 v228, v34, 16, 1                                 // 000000009AEC: D1C800E4 02052122
	v_add3_u32 v228, v34, v228, v231                           // 000000009AF4: D1FF00E4 079FC922
	v_cndmask_b32_e64 v32, v228, v230, s[78:79]                // 000000009AFC: D1000020 013BCDE4
	v_lshrrev_b32_e32 v32, 16, v32                             // 000000009B04: 20404090
	v_cmp_u_f32_e64 s[78:79], v35, v35                         // 000000009B08: D048004E 00024723
	v_bfe_u32 v228, v35, 16, 1                                 // 000000009B10: D1C800E4 02052123
	v_add3_u32 v228, v35, v228, v231                           // 000000009B18: D1FF00E4 079FC923
	v_cndmask_b32_e64 v33, v228, v230, s[78:79]                // 000000009B20: D1000021 013BCDE4
	v_and_or_b32 v75, v33, v229, v32                           // 000000009B28: D201004B 0483CB21
	ds_write_b64 v31, v[68:69] offset:17408                    // 000000009B30: D89A4400 0000441F
	ds_write_b64 v31, v[70:71] offset:17952                    // 000000009B38: D89A4620 0000461F
	ds_write_b64 v31, v[72:73] offset:18496                    // 000000009B40: D89A4840 0000481F
	ds_write_b64 v31, v[74:75] offset:19040                    // 000000009B48: D89A4A60 00004A1F
	s_waitcnt lgkmcnt(0)                                       // 000000009B50: BF8CC07F
	s_barrier                                                  // 000000009B54: BF8A0000
	ds_read_b64 v[68:69], v30 offset:17408                     // 000000009B58: D8EC4400 4400001E
	ds_read_b64 v[70:71], v30 offset:17536                     // 000000009B60: D8EC4480 4600001E
	ds_read_b64 v[72:73], v30 offset:17472                     // 000000009B68: D8EC4440 4800001E
	ds_read_b64 v[74:75], v30 offset:17600                     // 000000009B70: D8EC44C0 4A00001E
	s_waitcnt lgkmcnt(0)                                       // 000000009B78: BF8CC07F
	buffer_store_dwordx4 v[68:71], v5, s[36:39], 0 idxen       // 000000009B7C: E07C2000 80094405
	s_mul_i32 s60, 2, s46                                      // 000000009B84: 923C2E82
	v_add_u32_e32 v5, s60, v5                                  // 000000009B88: 680A0A3C
	buffer_store_dwordx4 v[72:75], v5, s[36:39], 0 idxen       // 000000009B8C: E07C2000 80094805
	s_mul_i32 s60, 2, s46                                      // 000000009B94: 923C2E82
	v_add_u32_e32 v5, s60, v5                                  // 000000009B98: 680A0A3C
	s_mul_i32 s60, 12, s46                                     // 000000009B9C: 923C2E8C
	v_add_u32_e32 v5, s60, v5                                  // 000000009BA0: 680A0A3C
	s_barrier                                                  // 000000009BA4: BF8A0000
	s_cmp_ge_i32 3, s72                                        // 000000009BA8: BF034883
	s_cbranch_scc1 label_176C                                  // 000000009BAC: BF850000

0000000000009bb0 <label_176C>:
	v_mov_b32_e32 v34, v180                                    // 000000009BB0: 7E4403B4
	v_mov_b32_e32 v35, v181                                    // 000000009BB4: 7E4603B5
	v_cmp_u_f32_e64 s[78:79], v34, v34                         // 000000009BB8: D048004E 00024522
	v_bfe_u32 v228, v34, 16, 1                                 // 000000009BC0: D1C800E4 02052122
	v_add3_u32 v228, v34, v228, v231                           // 000000009BC8: D1FF00E4 079FC922
	v_cndmask_b32_e64 v32, v228, v230, s[78:79]                // 000000009BD0: D1000020 013BCDE4
	v_lshrrev_b32_e32 v32, 16, v32                             // 000000009BD8: 20404090
	v_cmp_u_f32_e64 s[78:79], v35, v35                         // 000000009BDC: D048004E 00024723
	v_bfe_u32 v228, v35, 16, 1                                 // 000000009BE4: D1C800E4 02052123
	v_add3_u32 v228, v35, v228, v231                           // 000000009BEC: D1FF00E4 079FC923
	v_cndmask_b32_e64 v33, v228, v230, s[78:79]                // 000000009BF4: D1000021 013BCDE4
	v_and_or_b32 v180, v33, v229, v32                          // 000000009BFC: D20100B4 0483CB21
	v_mov_b32_e32 v34, v182                                    // 000000009C04: 7E4403B6
	v_mov_b32_e32 v35, v183                                    // 000000009C08: 7E4603B7
	v_cmp_u_f32_e64 s[78:79], v34, v34                         // 000000009C0C: D048004E 00024522
	v_bfe_u32 v228, v34, 16, 1                                 // 000000009C14: D1C800E4 02052122
	v_add3_u32 v228, v34, v228, v231                           // 000000009C1C: D1FF00E4 079FC922
	v_cndmask_b32_e64 v32, v228, v230, s[78:79]                // 000000009C24: D1000020 013BCDE4
	v_lshrrev_b32_e32 v32, 16, v32                             // 000000009C2C: 20404090
	v_cmp_u_f32_e64 s[78:79], v35, v35                         // 000000009C30: D048004E 00024723
	v_bfe_u32 v228, v35, 16, 1                                 // 000000009C38: D1C800E4 02052123
	v_add3_u32 v228, v35, v228, v231                           // 000000009C40: D1FF00E4 079FC923
	v_cndmask_b32_e64 v33, v228, v230, s[78:79]                // 000000009C48: D1000021 013BCDE4
	v_and_or_b32 v181, v33, v229, v32                          // 000000009C50: D20100B5 0483CB21
	v_mov_b32_e32 v34, v184                                    // 000000009C58: 7E4403B8
	v_mov_b32_e32 v35, v185                                    // 000000009C5C: 7E4603B9
	v_cmp_u_f32_e64 s[78:79], v34, v34                         // 000000009C60: D048004E 00024522
	v_bfe_u32 v228, v34, 16, 1                                 // 000000009C68: D1C800E4 02052122
	v_add3_u32 v228, v34, v228, v231                           // 000000009C70: D1FF00E4 079FC922
	v_cndmask_b32_e64 v32, v228, v230, s[78:79]                // 000000009C78: D1000020 013BCDE4
	v_lshrrev_b32_e32 v32, 16, v32                             // 000000009C80: 20404090
	v_cmp_u_f32_e64 s[78:79], v35, v35                         // 000000009C84: D048004E 00024723
	v_bfe_u32 v228, v35, 16, 1                                 // 000000009C8C: D1C800E4 02052123
	v_add3_u32 v228, v35, v228, v231                           // 000000009C94: D1FF00E4 079FC923
	v_cndmask_b32_e64 v33, v228, v230, s[78:79]                // 000000009C9C: D1000021 013BCDE4
	v_and_or_b32 v182, v33, v229, v32                          // 000000009CA4: D20100B6 0483CB21
	v_mov_b32_e32 v34, v186                                    // 000000009CAC: 7E4403BA
	v_mov_b32_e32 v35, v187                                    // 000000009CB0: 7E4603BB
	v_cmp_u_f32_e64 s[78:79], v34, v34                         // 000000009CB4: D048004E 00024522
	v_bfe_u32 v228, v34, 16, 1                                 // 000000009CBC: D1C800E4 02052122
	v_add3_u32 v228, v34, v228, v231                           // 000000009CC4: D1FF00E4 079FC922
	v_cndmask_b32_e64 v32, v228, v230, s[78:79]                // 000000009CCC: D1000020 013BCDE4
	v_lshrrev_b32_e32 v32, 16, v32                             // 000000009CD4: 20404090
	v_cmp_u_f32_e64 s[78:79], v35, v35                         // 000000009CD8: D048004E 00024723
	v_bfe_u32 v228, v35, 16, 1                                 // 000000009CE0: D1C800E4 02052123
	v_add3_u32 v228, v35, v228, v231                           // 000000009CE8: D1FF00E4 079FC923
	v_cndmask_b32_e64 v33, v228, v230, s[78:79]                // 000000009CF0: D1000021 013BCDE4
	v_and_or_b32 v183, v33, v229, v32                          // 000000009CF8: D20100B7 0483CB21
	v_mov_b32_e32 v34, v188                                    // 000000009D00: 7E4403BC
	v_mov_b32_e32 v35, v189                                    // 000000009D04: 7E4603BD
	v_cmp_u_f32_e64 s[78:79], v34, v34                         // 000000009D08: D048004E 00024522
	v_bfe_u32 v228, v34, 16, 1                                 // 000000009D10: D1C800E4 02052122
	v_add3_u32 v228, v34, v228, v231                           // 000000009D18: D1FF00E4 079FC922
	v_cndmask_b32_e64 v32, v228, v230, s[78:79]                // 000000009D20: D1000020 013BCDE4
	v_lshrrev_b32_e32 v32, 16, v32                             // 000000009D28: 20404090
	v_cmp_u_f32_e64 s[78:79], v35, v35                         // 000000009D2C: D048004E 00024723
	v_bfe_u32 v228, v35, 16, 1                                 // 000000009D34: D1C800E4 02052123
	v_add3_u32 v228, v35, v228, v231                           // 000000009D3C: D1FF00E4 079FC923
	v_cndmask_b32_e64 v33, v228, v230, s[78:79]                // 000000009D44: D1000021 013BCDE4
	v_and_or_b32 v184, v33, v229, v32                          // 000000009D4C: D20100B8 0483CB21
	v_mov_b32_e32 v34, v190                                    // 000000009D54: 7E4403BE
	v_mov_b32_e32 v35, v191                                    // 000000009D58: 7E4603BF
	v_cmp_u_f32_e64 s[78:79], v34, v34                         // 000000009D5C: D048004E 00024522
	v_bfe_u32 v228, v34, 16, 1                                 // 000000009D64: D1C800E4 02052122
	v_add3_u32 v228, v34, v228, v231                           // 000000009D6C: D1FF00E4 079FC922
	v_cndmask_b32_e64 v32, v228, v230, s[78:79]                // 000000009D74: D1000020 013BCDE4
	v_lshrrev_b32_e32 v32, 16, v32                             // 000000009D7C: 20404090
	v_cmp_u_f32_e64 s[78:79], v35, v35                         // 000000009D80: D048004E 00024723
	v_bfe_u32 v228, v35, 16, 1                                 // 000000009D88: D1C800E4 02052123
	v_add3_u32 v228, v35, v228, v231                           // 000000009D90: D1FF00E4 079FC923
	v_cndmask_b32_e64 v33, v228, v230, s[78:79]                // 000000009D98: D1000021 013BCDE4
	v_and_or_b32 v185, v33, v229, v32                          // 000000009DA0: D20100B9 0483CB21
	v_mov_b32_e32 v34, v192                                    // 000000009DA8: 7E4403C0
	v_mov_b32_e32 v35, v193                                    // 000000009DAC: 7E4603C1
	v_cmp_u_f32_e64 s[78:79], v34, v34                         // 000000009DB0: D048004E 00024522
	v_bfe_u32 v228, v34, 16, 1                                 // 000000009DB8: D1C800E4 02052122
	v_add3_u32 v228, v34, v228, v231                           // 000000009DC0: D1FF00E4 079FC922
	v_cndmask_b32_e64 v32, v228, v230, s[78:79]                // 000000009DC8: D1000020 013BCDE4
	v_lshrrev_b32_e32 v32, 16, v32                             // 000000009DD0: 20404090
	v_cmp_u_f32_e64 s[78:79], v35, v35                         // 000000009DD4: D048004E 00024723
	v_bfe_u32 v228, v35, 16, 1                                 // 000000009DDC: D1C800E4 02052123
	v_add3_u32 v228, v35, v228, v231                           // 000000009DE4: D1FF00E4 079FC923
	v_cndmask_b32_e64 v33, v228, v230, s[78:79]                // 000000009DEC: D1000021 013BCDE4
	v_and_or_b32 v186, v33, v229, v32                          // 000000009DF4: D20100BA 0483CB21
	v_mov_b32_e32 v34, v194                                    // 000000009DFC: 7E4403C2
	v_mov_b32_e32 v35, v195                                    // 000000009E00: 7E4603C3
	v_cmp_u_f32_e64 s[78:79], v34, v34                         // 000000009E04: D048004E 00024522
	v_bfe_u32 v228, v34, 16, 1                                 // 000000009E0C: D1C800E4 02052122
	v_add3_u32 v228, v34, v228, v231                           // 000000009E14: D1FF00E4 079FC922
	v_cndmask_b32_e64 v32, v228, v230, s[78:79]                // 000000009E1C: D1000020 013BCDE4
	v_lshrrev_b32_e32 v32, 16, v32                             // 000000009E24: 20404090
	v_cmp_u_f32_e64 s[78:79], v35, v35                         // 000000009E28: D048004E 00024723
	v_bfe_u32 v228, v35, 16, 1                                 // 000000009E30: D1C800E4 02052123
	v_add3_u32 v228, v35, v228, v231                           // 000000009E38: D1FF00E4 079FC923
	v_cndmask_b32_e64 v33, v228, v230, s[78:79]                // 000000009E40: D1000021 013BCDE4
	v_and_or_b32 v187, v33, v229, v32                          // 000000009E48: D20100BB 0483CB21
	ds_write_b64 v31, v[180:181]                               // 000000009E50: D89A0000 0000B41F
	ds_write_b64 v31, v[182:183] offset:544                    // 000000009E58: D89A0220 0000B61F
	ds_write_b64 v31, v[184:185] offset:1088                   // 000000009E60: D89A0440 0000B81F
	ds_write_b64 v31, v[186:187] offset:1632                   // 000000009E68: D89A0660 0000BA1F
	s_waitcnt lgkmcnt(0)                                       // 000000009E70: BF8CC07F
	s_barrier                                                  // 000000009E74: BF8A0000
	ds_read_b64 v[180:181], v30                                // 000000009E78: D8EC0000 B400001E
	ds_read_b64 v[182:183], v30 offset:128                     // 000000009E80: D8EC0080 B600001E
	ds_read_b64 v[184:185], v30 offset:64                      // 000000009E88: D8EC0040 B800001E
	ds_read_b64 v[186:187], v30 offset:192                     // 000000009E90: D8EC00C0 BA00001E
	s_waitcnt lgkmcnt(0)                                       // 000000009E98: BF8CC07F
	buffer_store_dwordx4 v[180:183], v14, s[40:43], 0 idxen    // 000000009E9C: E07C2000 800AB40E
	s_mul_i32 s60, 2, s46                                      // 000000009EA4: 923C2E82
	v_add_u32_e32 v14, s60, v14                                // 000000009EA8: 681C1C3C
	buffer_store_dwordx4 v[184:187], v14, s[40:43], 0 idxen    // 000000009EAC: E07C2000 800AB80E
	s_mul_i32 s60, 2, s46                                      // 000000009EB4: 923C2E82
	v_add_u32_e32 v14, s60, v14                                // 000000009EB8: 681C1C3C
	s_mul_i32 s60, 12, s46                                     // 000000009EBC: 923C2E8C
	v_add_u32_e32 v14, s60, v14                                // 000000009EC0: 681C1C3C
	s_cmp_ge_i32 1, s72                                        // 000000009EC4: BF034881
	s_cbranch_scc1 label_19C1                                  // 000000009EC8: BF85018E
	v_mov_b32_e32 v34, v196                                    // 000000009ECC: 7E4403C4
	v_mov_b32_e32 v35, v197                                    // 000000009ED0: 7E4603C5
	v_cmp_u_f32_e64 s[78:79], v34, v34                         // 000000009ED4: D048004E 00024522
	v_bfe_u32 v228, v34, 16, 1                                 // 000000009EDC: D1C800E4 02052122
	v_add3_u32 v228, v34, v228, v231                           // 000000009EE4: D1FF00E4 079FC922
	v_cndmask_b32_e64 v32, v228, v230, s[78:79]                // 000000009EEC: D1000020 013BCDE4
	v_lshrrev_b32_e32 v32, 16, v32                             // 000000009EF4: 20404090
	v_cmp_u_f32_e64 s[78:79], v35, v35                         // 000000009EF8: D048004E 00024723
	v_bfe_u32 v228, v35, 16, 1                                 // 000000009F00: D1C800E4 02052123
	v_add3_u32 v228, v35, v228, v231                           // 000000009F08: D1FF00E4 079FC923
	v_cndmask_b32_e64 v33, v228, v230, s[78:79]                // 000000009F10: D1000021 013BCDE4
	v_and_or_b32 v188, v33, v229, v32                          // 000000009F18: D20100BC 0483CB21
	v_mov_b32_e32 v34, v198                                    // 000000009F20: 7E4403C6
	v_mov_b32_e32 v35, v199                                    // 000000009F24: 7E4603C7
	v_cmp_u_f32_e64 s[78:79], v34, v34                         // 000000009F28: D048004E 00024522
	v_bfe_u32 v228, v34, 16, 1                                 // 000000009F30: D1C800E4 02052122
	v_add3_u32 v228, v34, v228, v231                           // 000000009F38: D1FF00E4 079FC922
	v_cndmask_b32_e64 v32, v228, v230, s[78:79]                // 000000009F40: D1000020 013BCDE4
	v_lshrrev_b32_e32 v32, 16, v32                             // 000000009F48: 20404090
	v_cmp_u_f32_e64 s[78:79], v35, v35                         // 000000009F4C: D048004E 00024723
	v_bfe_u32 v228, v35, 16, 1                                 // 000000009F54: D1C800E4 02052123
	v_add3_u32 v228, v35, v228, v231                           // 000000009F5C: D1FF00E4 079FC923
	v_cndmask_b32_e64 v33, v228, v230, s[78:79]                // 000000009F64: D1000021 013BCDE4
	v_and_or_b32 v189, v33, v229, v32                          // 000000009F6C: D20100BD 0483CB21
	v_mov_b32_e32 v34, v200                                    // 000000009F74: 7E4403C8
	v_mov_b32_e32 v35, v201                                    // 000000009F78: 7E4603C9
	v_cmp_u_f32_e64 s[78:79], v34, v34                         // 000000009F7C: D048004E 00024522
	v_bfe_u32 v228, v34, 16, 1                                 // 000000009F84: D1C800E4 02052122
	v_add3_u32 v228, v34, v228, v231                           // 000000009F8C: D1FF00E4 079FC922
	v_cndmask_b32_e64 v32, v228, v230, s[78:79]                // 000000009F94: D1000020 013BCDE4
	v_lshrrev_b32_e32 v32, 16, v32                             // 000000009F9C: 20404090
	v_cmp_u_f32_e64 s[78:79], v35, v35                         // 000000009FA0: D048004E 00024723
	v_bfe_u32 v228, v35, 16, 1                                 // 000000009FA8: D1C800E4 02052123
	v_add3_u32 v228, v35, v228, v231                           // 000000009FB0: D1FF00E4 079FC923
	v_cndmask_b32_e64 v33, v228, v230, s[78:79]                // 000000009FB8: D1000021 013BCDE4
	v_and_or_b32 v190, v33, v229, v32                          // 000000009FC0: D20100BE 0483CB21
	v_mov_b32_e32 v34, v202                                    // 000000009FC8: 7E4403CA
	v_mov_b32_e32 v35, v203                                    // 000000009FCC: 7E4603CB
	v_cmp_u_f32_e64 s[78:79], v34, v34                         // 000000009FD0: D048004E 00024522
	v_bfe_u32 v228, v34, 16, 1                                 // 000000009FD8: D1C800E4 02052122
	v_add3_u32 v228, v34, v228, v231                           // 000000009FE0: D1FF00E4 079FC922
	v_cndmask_b32_e64 v32, v228, v230, s[78:79]                // 000000009FE8: D1000020 013BCDE4
	v_lshrrev_b32_e32 v32, 16, v32                             // 000000009FF0: 20404090
	v_cmp_u_f32_e64 s[78:79], v35, v35                         // 000000009FF4: D048004E 00024723
	v_bfe_u32 v228, v35, 16, 1                                 // 000000009FFC: D1C800E4 02052123
	v_add3_u32 v228, v35, v228, v231                           // 00000000A004: D1FF00E4 079FC923
	v_cndmask_b32_e64 v33, v228, v230, s[78:79]                // 00000000A00C: D1000021 013BCDE4
	v_and_or_b32 v191, v33, v229, v32                          // 00000000A014: D20100BF 0483CB21
	v_mov_b32_e32 v34, v204                                    // 00000000A01C: 7E4403CC
	v_mov_b32_e32 v35, v205                                    // 00000000A020: 7E4603CD
	v_cmp_u_f32_e64 s[78:79], v34, v34                         // 00000000A024: D048004E 00024522
	v_bfe_u32 v228, v34, 16, 1                                 // 00000000A02C: D1C800E4 02052122
	v_add3_u32 v228, v34, v228, v231                           // 00000000A034: D1FF00E4 079FC922
	v_cndmask_b32_e64 v32, v228, v230, s[78:79]                // 00000000A03C: D1000020 013BCDE4
	v_lshrrev_b32_e32 v32, 16, v32                             // 00000000A044: 20404090
	v_cmp_u_f32_e64 s[78:79], v35, v35                         // 00000000A048: D048004E 00024723
	v_bfe_u32 v228, v35, 16, 1                                 // 00000000A050: D1C800E4 02052123
	v_add3_u32 v228, v35, v228, v231                           // 00000000A058: D1FF00E4 079FC923
	v_cndmask_b32_e64 v33, v228, v230, s[78:79]                // 00000000A060: D1000021 013BCDE4
	v_and_or_b32 v192, v33, v229, v32                          // 00000000A068: D20100C0 0483CB21
	v_mov_b32_e32 v34, v206                                    // 00000000A070: 7E4403CE
	v_mov_b32_e32 v35, v207                                    // 00000000A074: 7E4603CF
	v_cmp_u_f32_e64 s[78:79], v34, v34                         // 00000000A078: D048004E 00024522
	v_bfe_u32 v228, v34, 16, 1                                 // 00000000A080: D1C800E4 02052122
	v_add3_u32 v228, v34, v228, v231                           // 00000000A088: D1FF00E4 079FC922
	v_cndmask_b32_e64 v32, v228, v230, s[78:79]                // 00000000A090: D1000020 013BCDE4
	v_lshrrev_b32_e32 v32, 16, v32                             // 00000000A098: 20404090
	v_cmp_u_f32_e64 s[78:79], v35, v35                         // 00000000A09C: D048004E 00024723
	v_bfe_u32 v228, v35, 16, 1                                 // 00000000A0A4: D1C800E4 02052123
	v_add3_u32 v228, v35, v228, v231                           // 00000000A0AC: D1FF00E4 079FC923
	v_cndmask_b32_e64 v33, v228, v230, s[78:79]                // 00000000A0B4: D1000021 013BCDE4
	v_and_or_b32 v193, v33, v229, v32                          // 00000000A0BC: D20100C1 0483CB21
	v_mov_b32_e32 v34, v208                                    // 00000000A0C4: 7E4403D0
	v_mov_b32_e32 v35, v209                                    // 00000000A0C8: 7E4603D1
	v_cmp_u_f32_e64 s[78:79], v34, v34                         // 00000000A0CC: D048004E 00024522
	v_bfe_u32 v228, v34, 16, 1                                 // 00000000A0D4: D1C800E4 02052122
	v_add3_u32 v228, v34, v228, v231                           // 00000000A0DC: D1FF00E4 079FC922
	v_cndmask_b32_e64 v32, v228, v230, s[78:79]                // 00000000A0E4: D1000020 013BCDE4
	v_lshrrev_b32_e32 v32, 16, v32                             // 00000000A0EC: 20404090
	v_cmp_u_f32_e64 s[78:79], v35, v35                         // 00000000A0F0: D048004E 00024723
	v_bfe_u32 v228, v35, 16, 1                                 // 00000000A0F8: D1C800E4 02052123
	v_add3_u32 v228, v35, v228, v231                           // 00000000A100: D1FF00E4 079FC923
	v_cndmask_b32_e64 v33, v228, v230, s[78:79]                // 00000000A108: D1000021 013BCDE4
	v_and_or_b32 v194, v33, v229, v32                          // 00000000A110: D20100C2 0483CB21
	v_mov_b32_e32 v34, v210                                    // 00000000A118: 7E4403D2
	v_mov_b32_e32 v35, v211                                    // 00000000A11C: 7E4603D3
	v_cmp_u_f32_e64 s[78:79], v34, v34                         // 00000000A120: D048004E 00024522
	v_bfe_u32 v228, v34, 16, 1                                 // 00000000A128: D1C800E4 02052122
	v_add3_u32 v228, v34, v228, v231                           // 00000000A130: D1FF00E4 079FC922
	v_cndmask_b32_e64 v32, v228, v230, s[78:79]                // 00000000A138: D1000020 013BCDE4
	v_lshrrev_b32_e32 v32, 16, v32                             // 00000000A140: 20404090
	v_cmp_u_f32_e64 s[78:79], v35, v35                         // 00000000A144: D048004E 00024723
	v_bfe_u32 v228, v35, 16, 1                                 // 00000000A14C: D1C800E4 02052123
	v_add3_u32 v228, v35, v228, v231                           // 00000000A154: D1FF00E4 079FC923
	v_cndmask_b32_e64 v33, v228, v230, s[78:79]                // 00000000A15C: D1000021 013BCDE4
	v_and_or_b32 v195, v33, v229, v32                          // 00000000A164: D20100C3 0483CB21
	ds_write_b64 v31, v[188:189] offset:8704                   // 00000000A16C: D89A2200 0000BC1F
	ds_write_b64 v31, v[190:191] offset:9248                   // 00000000A174: D89A2420 0000BE1F
	ds_write_b64 v31, v[192:193] offset:9792                   // 00000000A17C: D89A2640 0000C01F
	ds_write_b64 v31, v[194:195] offset:10336                  // 00000000A184: D89A2860 0000C21F
	s_waitcnt lgkmcnt(0)                                       // 00000000A18C: BF8CC07F
	s_barrier                                                  // 00000000A190: BF8A0000
	ds_read_b64 v[188:189], v30 offset:8704                    // 00000000A194: D8EC2200 BC00001E
	ds_read_b64 v[190:191], v30 offset:8832                    // 00000000A19C: D8EC2280 BE00001E
	ds_read_b64 v[192:193], v30 offset:8768                    // 00000000A1A4: D8EC2240 C000001E
	ds_read_b64 v[194:195], v30 offset:8896                    // 00000000A1AC: D8EC22C0 C200001E
	s_waitcnt lgkmcnt(0)                                       // 00000000A1B4: BF8CC07F
	buffer_store_dwordx4 v[188:191], v14, s[40:43], 0 idxen    // 00000000A1B8: E07C2000 800ABC0E
	s_mul_i32 s60, 2, s46                                      // 00000000A1C0: 923C2E82
	v_add_u32_e32 v14, s60, v14                                // 00000000A1C4: 681C1C3C
	buffer_store_dwordx4 v[192:195], v14, s[40:43], 0 idxen    // 00000000A1C8: E07C2000 800AC00E
	s_mul_i32 s60, 2, s46                                      // 00000000A1D0: 923C2E82
	v_add_u32_e32 v14, s60, v14                                // 00000000A1D4: 681C1C3C
	s_mul_i32 s60, 12, s46                                     // 00000000A1D8: 923C2E8C
	v_add_u32_e32 v14, s60, v14                                // 00000000A1DC: 681C1C3C
	s_cmp_ge_i32 2, s72                                        // 00000000A1E0: BF034882
	s_cbranch_scc1 label_19C1                                  // 00000000A1E4: BF8500C7
	v_mov_b32_e32 v34, v212                                    // 00000000A1E8: 7E4403D4
	v_mov_b32_e32 v35, v213                                    // 00000000A1EC: 7E4603D5
	v_cmp_u_f32_e64 s[78:79], v34, v34                         // 00000000A1F0: D048004E 00024522
	v_bfe_u32 v228, v34, 16, 1                                 // 00000000A1F8: D1C800E4 02052122
	v_add3_u32 v228, v34, v228, v231                           // 00000000A200: D1FF00E4 079FC922
	v_cndmask_b32_e64 v32, v228, v230, s[78:79]                // 00000000A208: D1000020 013BCDE4
	v_lshrrev_b32_e32 v32, 16, v32                             // 00000000A210: 20404090
	v_cmp_u_f32_e64 s[78:79], v35, v35                         // 00000000A214: D048004E 00024723
	v_bfe_u32 v228, v35, 16, 1                                 // 00000000A21C: D1C800E4 02052123
	v_add3_u32 v228, v35, v228, v231                           // 00000000A224: D1FF00E4 079FC923
	v_cndmask_b32_e64 v33, v228, v230, s[78:79]                // 00000000A22C: D1000021 013BCDE4
	v_and_or_b32 v196, v33, v229, v32                          // 00000000A234: D20100C4 0483CB21
	v_mov_b32_e32 v34, v214                                    // 00000000A23C: 7E4403D6
	v_mov_b32_e32 v35, v215                                    // 00000000A240: 7E4603D7
	v_cmp_u_f32_e64 s[78:79], v34, v34                         // 00000000A244: D048004E 00024522
	v_bfe_u32 v228, v34, 16, 1                                 // 00000000A24C: D1C800E4 02052122
	v_add3_u32 v228, v34, v228, v231                           // 00000000A254: D1FF00E4 079FC922
	v_cndmask_b32_e64 v32, v228, v230, s[78:79]                // 00000000A25C: D1000020 013BCDE4
	v_lshrrev_b32_e32 v32, 16, v32                             // 00000000A264: 20404090
	v_cmp_u_f32_e64 s[78:79], v35, v35                         // 00000000A268: D048004E 00024723
	v_bfe_u32 v228, v35, 16, 1                                 // 00000000A270: D1C800E4 02052123
	v_add3_u32 v228, v35, v228, v231                           // 00000000A278: D1FF00E4 079FC923
	v_cndmask_b32_e64 v33, v228, v230, s[78:79]                // 00000000A280: D1000021 013BCDE4
	v_and_or_b32 v197, v33, v229, v32                          // 00000000A288: D20100C5 0483CB21
	v_mov_b32_e32 v34, v216                                    // 00000000A290: 7E4403D8
	v_mov_b32_e32 v35, v217                                    // 00000000A294: 7E4603D9
	v_cmp_u_f32_e64 s[78:79], v34, v34                         // 00000000A298: D048004E 00024522
	v_bfe_u32 v228, v34, 16, 1                                 // 00000000A2A0: D1C800E4 02052122
	v_add3_u32 v228, v34, v228, v231                           // 00000000A2A8: D1FF00E4 079FC922
	v_cndmask_b32_e64 v32, v228, v230, s[78:79]                // 00000000A2B0: D1000020 013BCDE4
	v_lshrrev_b32_e32 v32, 16, v32                             // 00000000A2B8: 20404090
	v_cmp_u_f32_e64 s[78:79], v35, v35                         // 00000000A2BC: D048004E 00024723
	v_bfe_u32 v228, v35, 16, 1                                 // 00000000A2C4: D1C800E4 02052123
	v_add3_u32 v228, v35, v228, v231                           // 00000000A2CC: D1FF00E4 079FC923
	v_cndmask_b32_e64 v33, v228, v230, s[78:79]                // 00000000A2D4: D1000021 013BCDE4
	v_and_or_b32 v198, v33, v229, v32                          // 00000000A2DC: D20100C6 0483CB21
	v_mov_b32_e32 v34, v218                                    // 00000000A2E4: 7E4403DA
	v_mov_b32_e32 v35, v219                                    // 00000000A2E8: 7E4603DB
	v_cmp_u_f32_e64 s[78:79], v34, v34                         // 00000000A2EC: D048004E 00024522
	v_bfe_u32 v228, v34, 16, 1                                 // 00000000A2F4: D1C800E4 02052122
	v_add3_u32 v228, v34, v228, v231                           // 00000000A2FC: D1FF00E4 079FC922
	v_cndmask_b32_e64 v32, v228, v230, s[78:79]                // 00000000A304: D1000020 013BCDE4
	v_lshrrev_b32_e32 v32, 16, v32                             // 00000000A30C: 20404090
	v_cmp_u_f32_e64 s[78:79], v35, v35                         // 00000000A310: D048004E 00024723
	v_bfe_u32 v228, v35, 16, 1                                 // 00000000A318: D1C800E4 02052123
	v_add3_u32 v228, v35, v228, v231                           // 00000000A320: D1FF00E4 079FC923
	v_cndmask_b32_e64 v33, v228, v230, s[78:79]                // 00000000A328: D1000021 013BCDE4
	v_and_or_b32 v199, v33, v229, v32                          // 00000000A330: D20100C7 0483CB21
	v_mov_b32_e32 v34, v220                                    // 00000000A338: 7E4403DC
	v_mov_b32_e32 v35, v221                                    // 00000000A33C: 7E4603DD
	v_cmp_u_f32_e64 s[78:79], v34, v34                         // 00000000A340: D048004E 00024522
	v_bfe_u32 v228, v34, 16, 1                                 // 00000000A348: D1C800E4 02052122
	v_add3_u32 v228, v34, v228, v231                           // 00000000A350: D1FF00E4 079FC922
	v_cndmask_b32_e64 v32, v228, v230, s[78:79]                // 00000000A358: D1000020 013BCDE4
	v_lshrrev_b32_e32 v32, 16, v32                             // 00000000A360: 20404090
	v_cmp_u_f32_e64 s[78:79], v35, v35                         // 00000000A364: D048004E 00024723
	v_bfe_u32 v228, v35, 16, 1                                 // 00000000A36C: D1C800E4 02052123
	v_add3_u32 v228, v35, v228, v231                           // 00000000A374: D1FF00E4 079FC923
	v_cndmask_b32_e64 v33, v228, v230, s[78:79]                // 00000000A37C: D1000021 013BCDE4
	v_and_or_b32 v200, v33, v229, v32                          // 00000000A384: D20100C8 0483CB21
	v_mov_b32_e32 v34, v222                                    // 00000000A38C: 7E4403DE
	v_mov_b32_e32 v35, v223                                    // 00000000A390: 7E4603DF
	v_cmp_u_f32_e64 s[78:79], v34, v34                         // 00000000A394: D048004E 00024522
	v_bfe_u32 v228, v34, 16, 1                                 // 00000000A39C: D1C800E4 02052122
	v_add3_u32 v228, v34, v228, v231                           // 00000000A3A4: D1FF00E4 079FC922
	v_cndmask_b32_e64 v32, v228, v230, s[78:79]                // 00000000A3AC: D1000020 013BCDE4
	v_lshrrev_b32_e32 v32, 16, v32                             // 00000000A3B4: 20404090
	v_cmp_u_f32_e64 s[78:79], v35, v35                         // 00000000A3B8: D048004E 00024723
	v_bfe_u32 v228, v35, 16, 1                                 // 00000000A3C0: D1C800E4 02052123
	v_add3_u32 v228, v35, v228, v231                           // 00000000A3C8: D1FF00E4 079FC923
	v_cndmask_b32_e64 v33, v228, v230, s[78:79]                // 00000000A3D0: D1000021 013BCDE4
	v_and_or_b32 v201, v33, v229, v32                          // 00000000A3D8: D20100C9 0483CB21
	v_mov_b32_e32 v34, v224                                    // 00000000A3E0: 7E4403E0
	v_mov_b32_e32 v35, v225                                    // 00000000A3E4: 7E4603E1
	v_cmp_u_f32_e64 s[78:79], v34, v34                         // 00000000A3E8: D048004E 00024522
	v_bfe_u32 v228, v34, 16, 1                                 // 00000000A3F0: D1C800E4 02052122
	v_add3_u32 v228, v34, v228, v231                           // 00000000A3F8: D1FF00E4 079FC922
	v_cndmask_b32_e64 v32, v228, v230, s[78:79]                // 00000000A400: D1000020 013BCDE4
	v_lshrrev_b32_e32 v32, 16, v32                             // 00000000A408: 20404090
	v_cmp_u_f32_e64 s[78:79], v35, v35                         // 00000000A40C: D048004E 00024723
	v_bfe_u32 v228, v35, 16, 1                                 // 00000000A414: D1C800E4 02052123
	v_add3_u32 v228, v35, v228, v231                           // 00000000A41C: D1FF00E4 079FC923
	v_cndmask_b32_e64 v33, v228, v230, s[78:79]                // 00000000A424: D1000021 013BCDE4
	v_and_or_b32 v202, v33, v229, v32                          // 00000000A42C: D20100CA 0483CB21
	v_mov_b32_e32 v34, v226                                    // 00000000A434: 7E4403E2
	v_mov_b32_e32 v35, v227                                    // 00000000A438: 7E4603E3
	v_cmp_u_f32_e64 s[78:79], v34, v34                         // 00000000A43C: D048004E 00024522
	v_bfe_u32 v228, v34, 16, 1                                 // 00000000A444: D1C800E4 02052122
	v_add3_u32 v228, v34, v228, v231                           // 00000000A44C: D1FF00E4 079FC922
	v_cndmask_b32_e64 v32, v228, v230, s[78:79]                // 00000000A454: D1000020 013BCDE4
	v_lshrrev_b32_e32 v32, 16, v32                             // 00000000A45C: 20404090
	v_cmp_u_f32_e64 s[78:79], v35, v35                         // 00000000A460: D048004E 00024723
	v_bfe_u32 v228, v35, 16, 1                                 // 00000000A468: D1C800E4 02052123
	v_add3_u32 v228, v35, v228, v231                           // 00000000A470: D1FF00E4 079FC923
	v_cndmask_b32_e64 v33, v228, v230, s[78:79]                // 00000000A478: D1000021 013BCDE4
	v_and_or_b32 v203, v33, v229, v32                          // 00000000A480: D20100CB 0483CB21
	ds_write_b64 v31, v[196:197] offset:17408                  // 00000000A488: D89A4400 0000C41F
	ds_write_b64 v31, v[198:199] offset:17952                  // 00000000A490: D89A4620 0000C61F
	ds_write_b64 v31, v[200:201] offset:18496                  // 00000000A498: D89A4840 0000C81F
	ds_write_b64 v31, v[202:203] offset:19040                  // 00000000A4A0: D89A4A60 0000CA1F
	s_waitcnt lgkmcnt(0)                                       // 00000000A4A8: BF8CC07F
	s_barrier                                                  // 00000000A4AC: BF8A0000
	ds_read_b64 v[196:197], v30 offset:17408                   // 00000000A4B0: D8EC4400 C400001E
	ds_read_b64 v[198:199], v30 offset:17536                   // 00000000A4B8: D8EC4480 C600001E
	ds_read_b64 v[200:201], v30 offset:17472                   // 00000000A4C0: D8EC4440 C800001E
	ds_read_b64 v[202:203], v30 offset:17600                   // 00000000A4C8: D8EC44C0 CA00001E
	s_waitcnt lgkmcnt(0)                                       // 00000000A4D0: BF8CC07F
	buffer_store_dwordx4 v[196:199], v14, s[40:43], 0 idxen    // 00000000A4D4: E07C2000 800AC40E
	s_mul_i32 s60, 2, s46                                      // 00000000A4DC: 923C2E82
	v_add_u32_e32 v14, s60, v14                                // 00000000A4E0: 681C1C3C
	buffer_store_dwordx4 v[200:203], v14, s[40:43], 0 idxen    // 00000000A4E4: E07C2000 800AC80E
	s_mul_i32 s60, 2, s46                                      // 00000000A4EC: 923C2E82
	v_add_u32_e32 v14, s60, v14                                // 00000000A4F0: 681C1C3C
	s_mul_i32 s60, 12, s46                                     // 00000000A4F4: 923C2E8C
	v_add_u32_e32 v14, s60, v14                                // 00000000A4F8: 681C1C3C
	s_cmp_ge_i32 3, s72                                        // 00000000A4FC: BF034883
	s_cbranch_scc1 label_19C1                                  // 00000000A500: BF850000

000000000000a504 <label_19C1>:
	s_waitcnt vmcnt(0) expcnt(0) lgkmcnt(0)                    // 00000000A504: BF8C0000
	s_mov_b32 s32, s90                                         // 00000000A508: BEA0005A
	s_mov_b32 s33, s91                                         // 00000000A50C: BEA1005B
	s_sub_i32 s60, s77, 1                                      // 00000000A510: 81BC814D
	s_sub_i32 s2, s60, s2                                      // 00000000A514: 8182023C
	s_addk_i32 s75, 0x1                                        // 00000000A518: B74B0001
	s_cmp_lt_i32 s75, s76                                      // 00000000A51C: BF044C4B
	s_cbranch_scc1 label_00F7                                  // 00000000A520: BF85E72E
	s_endpgm                                                   // 00000000A524: BF810000
